;; amdgpu-corpus repo=ROCm/rocFFT kind=compiled arch=gfx1100 opt=O3
	.text
	.amdgcn_target "amdgcn-amd-amdhsa--gfx1100"
	.amdhsa_code_object_version 6
	.protected	bluestein_single_back_len630_dim1_dp_op_CI_CI ; -- Begin function bluestein_single_back_len630_dim1_dp_op_CI_CI
	.globl	bluestein_single_back_len630_dim1_dp_op_CI_CI
	.p2align	8
	.type	bluestein_single_back_len630_dim1_dp_op_CI_CI,@function
bluestein_single_back_len630_dim1_dp_op_CI_CI: ; @bluestein_single_back_len630_dim1_dp_op_CI_CI
; %bb.0:
	s_load_b128 s[8:11], s[0:1], 0x28
	v_mul_u32_u24_e32 v1, 0x411, v0
	s_mov_b32 s2, exec_lo
	v_mov_b32_e32 v3, 0
	s_delay_alu instid0(VALU_DEP_2) | instskip(NEXT) | instid1(VALU_DEP_1)
	v_lshrrev_b32_e32 v1, 16, v1
	v_add_nc_u32_e32 v2, s15, v1
	s_waitcnt lgkmcnt(0)
	s_delay_alu instid0(VALU_DEP_1)
	v_cmpx_gt_u64_e64 s[8:9], v[2:3]
	s_cbranch_execz .LBB0_31
; %bb.1:
	s_clause 0x1
	s_load_b128 s[4:7], s[0:1], 0x18
	s_load_b64 s[2:3], s[0:1], 0x0
	v_mul_lo_u16 v1, v1, 63
	s_delay_alu instid0(VALU_DEP_1) | instskip(NEXT) | instid1(VALU_DEP_1)
	v_sub_nc_u16 v0, v0, v1
	v_dual_mov_b32 v1, v2 :: v_dual_and_b32 v232, 0xffff, v0
	s_waitcnt lgkmcnt(0)
	s_load_b128 s[12:15], s[4:5], 0x0
	s_waitcnt lgkmcnt(0)
	v_mad_u64_u32 v[20:21], null, s14, v2, 0
	v_mad_u64_u32 v[22:23], null, s12, v232, 0
	s_mul_hi_u32 s5, s12, 0xd2
	s_mul_hi_u32 s9, s12, 0xfffffe9b
	s_mul_i32 s8, s13, 0xfffffe9b
	s_delay_alu instid0(VALU_DEP_1)
	v_dual_mov_b32 v16, v21 :: v_dual_mov_b32 v17, v23
	v_lshlrev_b32_e32 v231, 4, v232
	s_clause 0x3
	global_load_b128 v[110:113], v231, s[2:3]
	global_load_b128 v[4:7], v231, s[2:3] offset:1008
	global_load_b128 v[8:11], v231, s[2:3] offset:3360
	;; [unrolled: 1-line block ×3, first 2 shown]
	v_mad_u64_u32 v[23:24], null, s15, v2, v[16:17]
	v_mad_u64_u32 v[24:25], null, s13, v232, v[17:18]
	v_add_co_u32 v224, s4, s2, v231
	s_delay_alu instid0(VALU_DEP_1) | instskip(NEXT) | instid1(VALU_DEP_4)
	v_add_co_ci_u32_e64 v225, null, s3, 0, s4
	v_mov_b32_e32 v21, v23
	s_delay_alu instid0(VALU_DEP_3) | instskip(SKIP_1) | instid1(VALU_DEP_4)
	v_add_co_u32 v66, vcc_lo, 0x1000, v224
	v_mov_b32_e32 v23, v24
	v_add_co_ci_u32_e32 v67, vcc_lo, 0, v225, vcc_lo
	s_delay_alu instid0(VALU_DEP_4)
	v_lshlrev_b64 v[20:21], 4, v[20:21]
	v_add_co_u32 v70, vcc_lo, 0x2000, v224
	v_add_co_ci_u32_e32 v71, vcc_lo, 0, v225, vcc_lo
	v_lshlrev_b64 v[22:23], 4, v[22:23]
	scratch_store_b64 off, v[1:2], off offset:8 ; 8-byte Folded Spill
	v_add_co_u32 v1, vcc_lo, s10, v20
	v_add_co_ci_u32_e32 v2, vcc_lo, s11, v21, vcc_lo
	s_mul_i32 s3, s13, 0xd2
	s_delay_alu instid0(VALU_DEP_2)
	v_add_co_u32 v28, vcc_lo, v1, v22
	s_mul_i32 s2, s12, 0xd2
	s_add_i32 s3, s5, s3
	v_add_co_ci_u32_e32 v29, vcc_lo, v2, v23, vcc_lo
	s_lshl_b64 s[10:11], s[2:3], 4
	s_sub_i32 s5, s9, s12
	v_add_co_u32 v30, vcc_lo, v28, s10
	s_delay_alu instid0(VALU_DEP_2) | instskip(SKIP_1) | instid1(VALU_DEP_2)
	v_add_co_ci_u32_e32 v31, vcc_lo, s11, v29, vcc_lo
	s_mul_i32 s4, s12, 0xfffffe9b
	v_add_co_u32 v32, vcc_lo, v30, s10
	s_add_i32 s5, s5, s8
	s_delay_alu instid0(VALU_DEP_2)
	v_add_co_ci_u32_e32 v33, vcc_lo, s11, v31, vcc_lo
	s_lshl_b64 s[2:3], s[4:5], 4
	global_load_b128 v[16:19], v[66:67], off offset:272
	v_add_co_u32 v34, vcc_lo, v32, s2
	v_add_co_ci_u32_e32 v35, vcc_lo, s3, v33, vcc_lo
	s_clause 0x1
	global_load_b128 v[24:27], v[66:67], off offset:2624
	global_load_b128 v[20:23], v[66:67], off offset:3632
	v_add_co_u32 v36, vcc_lo, v34, s10
	v_add_co_ci_u32_e32 v37, vcc_lo, s11, v35, vcc_lo
	s_clause 0x1
	global_load_b128 v[38:41], v[28:29], off
	global_load_b128 v[42:45], v[30:31], off
	v_add_co_u32 v28, vcc_lo, v36, s10
	v_add_co_ci_u32_e32 v29, vcc_lo, s11, v37, vcc_lo
	s_clause 0x1
	global_load_b128 v[46:49], v[32:33], off
	global_load_b128 v[50:53], v[34:35], off
	v_add_co_u32 v30, vcc_lo, v28, s2
	v_add_co_ci_u32_e32 v31, vcc_lo, s3, v29, vcc_lo
	global_load_b128 v[54:57], v[36:37], off
	v_add_co_u32 v32, vcc_lo, v30, s10
	v_add_co_ci_u32_e32 v33, vcc_lo, s11, v31, vcc_lo
	;; [unrolled: 3-line block ×3, first 2 shown]
	scratch_store_b64 off, v[66:67], off offset:32 ; 8-byte Folded Spill
	global_load_b128 v[58:61], v[28:29], off
	global_load_b128 v[28:31], v[66:67], off offset:1280
	global_load_b128 v[66:69], v[32:33], off
	scratch_store_b64 off, v[70:71], off    ; 8-byte Folded Spill
	global_load_b128 v[32:35], v[70:71], off offset:544
	global_load_b128 v[70:73], v[36:37], off
	v_cmp_gt_u16_e32 vcc_lo, 21, v0
	s_waitcnt vmcnt(17)
	scratch_store_b128 off, v[110:113], off offset:16 ; 16-byte Folded Spill
	s_load_b64 s[8:9], s[0:1], 0x38
	s_load_b128 s[4:7], s[6:7], 0x0
	s_waitcnt vmcnt(10)
	v_mul_f64 v[74:75], v[40:41], v[112:113]
	v_mul_f64 v[76:77], v[38:39], v[112:113]
	s_waitcnt vmcnt(9)
	v_mul_f64 v[78:79], v[44:45], v[10:11]
	v_mul_f64 v[80:81], v[42:43], v[10:11]
	s_waitcnt vmcnt(8)
	v_mul_f64 v[82:83], v[48:49], v[26:27]
	s_waitcnt vmcnt(7)
	v_mul_f64 v[86:87], v[52:53], v[6:7]
	v_mul_f64 v[88:89], v[50:51], v[6:7]
	;; [unrolled: 1-line block ×3, first 2 shown]
	s_waitcnt vmcnt(6)
	v_mul_f64 v[90:91], v[56:57], v[18:19]
	v_mul_f64 v[92:93], v[54:55], v[18:19]
	s_waitcnt vmcnt(5)
	v_mul_f64 v[98:99], v[64:65], v[14:15]
	v_mul_f64 v[100:101], v[62:63], v[14:15]
	;; [unrolled: 3-line block ×5, first 2 shown]
	v_fma_f64 v[38:39], v[38:39], v[110:111], v[74:75]
	v_fma_f64 v[40:41], v[40:41], v[110:111], -v[76:77]
	v_fma_f64 v[42:43], v[42:43], v[8:9], v[78:79]
	v_fma_f64 v[44:45], v[44:45], v[8:9], -v[80:81]
	v_fma_f64 v[46:47], v[46:47], v[24:25], v[82:83]
	v_fma_f64 v[50:51], v[50:51], v[4:5], v[86:87]
	v_fma_f64 v[52:53], v[52:53], v[4:5], -v[88:89]
	v_fma_f64 v[48:49], v[48:49], v[24:25], -v[84:85]
	v_fma_f64 v[54:55], v[54:55], v[16:17], v[90:91]
	v_fma_f64 v[56:57], v[56:57], v[16:17], -v[92:93]
	v_fma_f64 v[62:63], v[62:63], v[12:13], v[98:99]
	;; [unrolled: 2-line block ×5, first 2 shown]
	v_fma_f64 v[72:73], v[72:73], v[32:33], -v[108:109]
	ds_store_b128 v231, v[38:41]
	ds_store_b128 v231, v[50:53] offset:1008
	ds_store_b128 v231, v[46:49] offset:6720
	;; [unrolled: 1-line block ×8, first 2 shown]
	s_and_saveexec_b32 s12, vcc_lo
	s_cbranch_execz .LBB0_3
; %bb.2:
	v_add_co_u32 v36, s2, v36, s2
	s_delay_alu instid0(VALU_DEP_1) | instskip(NEXT) | instid1(VALU_DEP_2)
	v_add_co_ci_u32_e64 v37, s2, s3, v37, s2
	v_add_co_u32 v44, s2, v36, s10
	s_delay_alu instid0(VALU_DEP_1) | instskip(SKIP_2) | instid1(VALU_DEP_1)
	v_add_co_ci_u32_e64 v45, s2, s11, v37, s2
	global_load_b128 v[36:39], v[36:37], off
	v_add_co_u32 v56, s2, v44, s10
	v_add_co_ci_u32_e64 v57, s2, s11, v45, s2
	global_load_b128 v[40:43], v[224:225], off offset:3024
	global_load_b128 v[44:47], v[44:45], off
	scratch_load_b64 v[0:1], off, off offset:32 ; 8-byte Folded Reload
	s_waitcnt vmcnt(0)
	global_load_b128 v[48:51], v[0:1], off offset:2288
	scratch_load_b64 v[0:1], off, off       ; 8-byte Folded Reload
	v_mul_f64 v[60:61], v[38:39], v[42:43]
	v_mul_f64 v[42:43], v[36:37], v[42:43]
	s_waitcnt vmcnt(0)
	global_load_b128 v[52:55], v[0:1], off offset:1552
	global_load_b128 v[56:59], v[56:57], off
	v_mul_f64 v[62:63], v[46:47], v[50:51]
	v_mul_f64 v[50:51], v[44:45], v[50:51]
	v_fma_f64 v[36:37], v[36:37], v[40:41], v[60:61]
	v_fma_f64 v[38:39], v[38:39], v[40:41], -v[42:43]
	s_delay_alu instid0(VALU_DEP_4) | instskip(NEXT) | instid1(VALU_DEP_4)
	v_fma_f64 v[40:41], v[44:45], v[48:49], v[62:63]
	v_fma_f64 v[42:43], v[46:47], v[48:49], -v[50:51]
	s_waitcnt vmcnt(0)
	v_mul_f64 v[64:65], v[58:59], v[54:55]
	v_mul_f64 v[54:55], v[56:57], v[54:55]
	s_delay_alu instid0(VALU_DEP_2) | instskip(NEXT) | instid1(VALU_DEP_2)
	v_fma_f64 v[44:45], v[56:57], v[52:53], v[64:65]
	v_fma_f64 v[46:47], v[58:59], v[52:53], -v[54:55]
	ds_store_b128 v231, v[36:39] offset:3024
	ds_store_b128 v231, v[40:43] offset:6384
	;; [unrolled: 1-line block ×3, first 2 shown]
.LBB0_3:
	s_or_b32 exec_lo, exec_lo, s12
	s_waitcnt lgkmcnt(0)
	s_waitcnt_vscnt null, 0x0
	s_barrier
	buffer_gl0_inv
	ds_load_b128 v[52:55], v231
	ds_load_b128 v[48:51], v231 offset:1008
	ds_load_b128 v[36:39], v231 offset:6720
	;; [unrolled: 1-line block ×8, first 2 shown]
                                        ; implicit-def: $vgpr60_vgpr61
                                        ; implicit-def: $vgpr76_vgpr77
                                        ; implicit-def: $vgpr80_vgpr81
	s_and_saveexec_b32 s2, vcc_lo
	s_cbranch_execz .LBB0_5
; %bb.4:
	ds_load_b128 v[60:63], v231 offset:3024
	ds_load_b128 v[76:79], v231 offset:6384
	;; [unrolled: 1-line block ×3, first 2 shown]
.LBB0_5:
	s_or_b32 exec_lo, exec_lo, s2
	s_waitcnt lgkmcnt(4)
	v_add_f64 v[84:85], v[72:73], v[36:37]
	v_add_f64 v[86:87], v[74:75], v[38:39]
	s_waitcnt lgkmcnt(2)
	v_add_f64 v[88:89], v[68:69], v[40:41]
	v_add_f64 v[90:91], v[70:71], v[42:43]
	;; [unrolled: 3-line block ×3, first 2 shown]
	v_add_f64 v[96:97], v[76:77], v[80:81]
	v_add_f64 v[98:99], v[78:79], v[82:83]
	;; [unrolled: 1-line block ×3, first 2 shown]
	v_add_f64 v[102:103], v[74:75], -v[38:39]
	v_add_f64 v[74:75], v[54:55], v[74:75]
	v_add_f64 v[112:113], v[60:61], v[76:77]
	;; [unrolled: 1-line block ×3, first 2 shown]
	v_add_f64 v[72:73], v[72:73], -v[36:37]
	v_add_f64 v[116:117], v[70:71], -v[42:43]
	;; [unrolled: 1-line block ×7, first 2 shown]
	v_add_f64 v[104:105], v[48:49], v[68:69]
	v_add_f64 v[106:107], v[50:51], v[70:71]
	;; [unrolled: 1-line block ×4, first 2 shown]
	s_mov_b32 s2, 0xe8584caa
	s_mov_b32 s3, 0x3febb67a
	;; [unrolled: 1-line block ×4, first 2 shown]
	v_mul_lo_u16 v0, v232, 3
	v_add_co_u32 v168, null, v232, 63
	s_barrier
	s_delay_alu instid0(VALU_DEP_2)
	v_and_b32_e32 v0, 0xffff, v0
	buffer_gl0_inv
	v_lshlrev_b32_e32 v3, 4, v0
	v_fma_f64 v[84:85], v[84:85], -0.5, v[52:53]
	v_fma_f64 v[86:87], v[86:87], -0.5, v[54:55]
	v_fma_f64 v[88:89], v[88:89], -0.5, v[48:49]
	v_fma_f64 v[90:91], v[90:91], -0.5, v[50:51]
	v_fma_f64 v[92:93], v[92:93], -0.5, v[56:57]
	v_fma_f64 v[94:95], v[94:95], -0.5, v[58:59]
	v_fma_f64 v[96:97], v[96:97], -0.5, v[60:61]
	v_fma_f64 v[98:99], v[98:99], -0.5, v[62:63]
	v_add_f64 v[48:49], v[100:101], v[36:37]
	v_add_f64 v[50:51], v[74:75], v[38:39]
	;; [unrolled: 1-line block ×4, first 2 shown]
	v_add_co_u32 v36, null, 0xbd, v232
	s_delay_alu instid0(VALU_DEP_1)
	v_mul_u32_u24_e32 v0, 3, v36
	v_add_f64 v[38:39], v[104:105], v[40:41]
	v_add_f64 v[40:41], v[106:107], v[42:43]
	;; [unrolled: 1-line block ×4, first 2 shown]
	scratch_store_b32 off, v0, off offset:68 ; 4-byte Folded Spill
	v_fma_f64 v[56:57], v[102:103], s[10:11], v[84:85]
	v_fma_f64 v[54:55], v[72:73], s[10:11], v[86:87]
	;; [unrolled: 1-line block ×16, first 2 shown]
	s_load_b64 s[2:3], s[0:1], 0x8
	v_add_co_u32 v37, s0, 0x7e, v232
	s_delay_alu instid0(VALU_DEP_1) | instskip(SKIP_1) | instid1(VALU_DEP_3)
	v_add_co_ci_u32_e64 v1, null, 0, 0, s0
	v_mul_u32_u24_e32 v1, 3, v168
	v_mul_u32_u24_e32 v2, 3, v37
	ds_store_b128 v3, v[48:51]
	ds_store_b128 v3, v[52:55] offset:16
	v_lshlrev_b32_e32 v1, 4, v1
	v_lshlrev_b32_e32 v0, 4, v2
	scratch_store_b32 off, v3, off offset:52 ; 4-byte Folded Spill
	ds_store_b128 v3, v[56:59] offset:32
	ds_store_b128 v1, v[38:41]
	ds_store_b128 v1, v[60:63] offset:16
	scratch_store_b32 off, v1, off offset:56 ; 4-byte Folded Spill
	ds_store_b128 v1, v[64:67] offset:32
	ds_store_b128 v0, v[42:45]
	ds_store_b128 v0, v[76:79] offset:16
	scratch_store_b32 off, v0, off offset:48 ; 4-byte Folded Spill
	ds_store_b128 v0, v[80:83] offset:32
	s_and_saveexec_b32 s0, vcc_lo
	s_cbranch_execz .LBB0_7
; %bb.6:
	v_mul_u32_u24_e32 v0, 3, v36
	s_delay_alu instid0(VALU_DEP_1)
	v_lshlrev_b32_e32 v0, 4, v0
	ds_store_b128 v0, v[68:71]
	ds_store_b128 v0, v[72:75] offset:16
	ds_store_b128 v0, v[88:91] offset:32
.LBB0_7:
	s_or_b32 exec_lo, exec_lo, s0
	s_waitcnt lgkmcnt(0)
	s_waitcnt_vscnt null, 0x0
	s_barrier
	buffer_gl0_inv
	ds_load_b128 v[80:83], v231
	ds_load_b128 v[76:79], v231 offset:1008
	ds_load_b128 v[104:107], v231 offset:6720
	;; [unrolled: 1-line block ×8, first 2 shown]
	s_and_saveexec_b32 s0, vcc_lo
	s_cbranch_execz .LBB0_9
; %bb.8:
	ds_load_b128 v[68:71], v231 offset:3024
	ds_load_b128 v[72:75], v231 offset:6384
	;; [unrolled: 1-line block ×3, first 2 shown]
.LBB0_9:
	s_or_b32 exec_lo, exec_lo, s0
	v_and_b32_e32 v116, 0xff, v232
	v_and_b32_e32 v169, 0xff, v168
	;; [unrolled: 1-line block ×4, first 2 shown]
	s_mov_b32 s0, 0xe8584caa
	v_mul_lo_u16 v0, 0xab, v116
	v_mul_lo_u16 v2, 0xab, v169
	;; [unrolled: 1-line block ×4, first 2 shown]
	s_mov_b32 s1, 0x3febb67a
	v_lshrrev_b16 v0, 9, v0
	v_lshrrev_b16 v2, 9, v2
	;; [unrolled: 1-line block ×4, first 2 shown]
	s_mov_b32 s10, s0
	v_mul_lo_u16 v38, v0, 3
	v_mul_lo_u16 v39, v2, 3
	;; [unrolled: 1-line block ×3, first 2 shown]
	v_and_b32_e32 v0, 0xffff, v0
	v_and_b32_e32 v2, 0xffff, v2
	v_sub_nc_u16 v38, v232, v38
	v_sub_nc_u16 v39, v168, v39
	v_sub_nc_u16 v37, v37, v40
	v_and_b32_e32 v1, 0xffff, v1
	v_mul_u32_u24_e32 v0, 9, v0
	v_and_b32_e32 v156, 0xff, v38
	v_mul_lo_u16 v38, v3, 3
	v_and_b32_e32 v157, 0xff, v39
	v_and_b32_e32 v158, 0xff, v37
	v_mul_u32_u24_e32 v2, 9, v2
	v_lshlrev_b32_e32 v39, 5, v156
	v_sub_nc_u16 v36, v36, v38
	v_lshlrev_b32_e32 v37, 5, v157
	v_mul_u32_u24_e32 v1, 9, v1
	v_and_b32_e32 v3, 0xffff, v3
	s_clause 0x1
	global_load_b128 v[64:67], v39, s[2:3]
	global_load_b128 v[60:63], v39, s[2:3] offset:16
	v_and_b32_e32 v38, 0xff, v36
	v_lshlrev_b32_e32 v36, 5, v158
	s_clause 0x1
	global_load_b128 v[56:59], v37, s[2:3]
	global_load_b128 v[52:55], v37, s[2:3] offset:16
	v_add_lshl_u32 v255, v0, v156, 4
	v_add_lshl_u32 v228, v2, v157, 4
	v_lshlrev_b32_e32 v37, 5, v38
	scratch_store_b32 off, v38, off offset:40 ; 4-byte Folded Spill
	s_clause 0x3
	global_load_b128 v[48:51], v36, s[2:3]
	global_load_b128 v[40:43], v36, s[2:3] offset:16
	global_load_b128 v[44:47], v37, s[2:3]
	global_load_b128 v[36:39], v37, s[2:3] offset:16
	v_add_lshl_u32 v0, v1, v158, 4
	scratch_store_b32 off, v3, off offset:60 ; 4-byte Folded Spill
	s_waitcnt vmcnt(0) lgkmcnt(0)
	s_waitcnt_vscnt null, 0x0
	s_barrier
	buffer_gl0_inv
	v_mul_f64 v[117:118], v[114:115], v[66:67]
	v_mul_f64 v[121:122], v[112:113], v[66:67]
	;; [unrolled: 1-line block ×16, first 2 shown]
	v_fma_f64 v[112:113], v[112:113], v[64:65], -v[117:118]
	v_fma_f64 v[114:115], v[114:115], v[64:65], v[121:122]
	v_fma_f64 v[106:107], v[106:107], v[60:61], v[123:124]
	v_fma_f64 v[104:105], v[104:105], v[60:61], -v[119:120]
	v_fma_f64 v[117:118], v[92:93], v[52:53], -v[127:128]
	;; [unrolled: 1-line block ×3, first 2 shown]
	v_fma_f64 v[110:111], v[110:111], v[56:57], v[129:130]
	v_fma_f64 v[96:97], v[96:97], v[48:49], -v[133:134]
	v_fma_f64 v[100:101], v[100:101], v[40:41], -v[135:136]
	v_fma_f64 v[98:99], v[98:99], v[48:49], v[137:138]
	v_fma_f64 v[102:103], v[102:103], v[40:41], v[139:140]
	v_fma_f64 v[92:93], v[72:73], v[44:45], -v[141:142]
	v_fma_f64 v[72:73], v[88:89], v[36:37], -v[143:144]
	v_fma_f64 v[88:89], v[74:75], v[44:45], v[145:146]
	v_fma_f64 v[74:75], v[90:91], v[36:37], v[147:148]
	;; [unrolled: 1-line block ×3, first 2 shown]
	v_add_f64 v[133:134], v[80:81], v[112:113]
	v_add_f64 v[119:120], v[114:115], v[106:107]
	;; [unrolled: 1-line block ×3, first 2 shown]
	v_add_f64 v[135:136], v[114:115], -v[106:107]
	v_add_f64 v[121:122], v[108:109], v[117:118]
	v_add_f64 v[114:115], v[82:83], v[114:115]
	;; [unrolled: 1-line block ×6, first 2 shown]
	v_add_f64 v[112:113], v[112:113], -v[104:105]
	v_add_f64 v[129:130], v[92:93], v[72:73]
	v_add_f64 v[145:146], v[98:99], -v[102:103]
	v_add_f64 v[131:132], v[88:89], v[74:75]
	v_add_f64 v[123:124], v[110:111], v[94:95]
	v_add_f64 v[147:148], v[96:97], -v[100:101]
	v_add_f64 v[150:151], v[88:89], -v[74:75]
	;; [unrolled: 1-line block ×3, first 2 shown]
	v_add_f64 v[139:140], v[78:79], v[110:111]
	v_add_f64 v[143:144], v[86:87], v[98:99]
	v_add_f64 v[110:111], v[110:111], -v[94:95]
	v_add_f64 v[108:109], v[108:109], -v[117:118]
	v_fma_f64 v[119:120], v[119:120], -0.5, v[82:83]
	v_fma_f64 v[90:91], v[90:91], -0.5, v[80:81]
	;; [unrolled: 1-line block ×3, first 2 shown]
	v_add_f64 v[76:77], v[133:134], v[104:105]
	v_add_f64 v[80:81], v[137:138], v[117:118]
	v_fma_f64 v[125:126], v[125:126], -0.5, v[84:85]
	v_add_f64 v[84:85], v[141:142], v[100:101]
	v_fma_f64 v[127:128], v[127:128], -0.5, v[86:87]
	v_fma_f64 v[129:130], v[129:130], -0.5, v[68:69]
	;; [unrolled: 1-line block ×4, first 2 shown]
	v_add_f64 v[78:79], v[114:115], v[106:107]
	v_add_f64 v[82:83], v[139:140], v[94:95]
	;; [unrolled: 1-line block ×3, first 2 shown]
	v_fma_f64 v[96:97], v[112:113], s[10:11], v[119:120]
	v_fma_f64 v[100:101], v[112:113], s[0:1], v[119:120]
	;; [unrolled: 1-line block ×16, first 2 shown]
	ds_store_b128 v255, v[76:79]
	ds_store_b128 v255, v[94:97] offset:48
	ds_store_b128 v255, v[98:101] offset:96
	ds_store_b128 v228, v[80:83]
	ds_store_b128 v228, v[102:105] offset:48
	ds_store_b128 v228, v[106:109] offset:96
	ds_store_b128 v0, v[84:87]
	ds_store_b128 v0, v[110:113] offset:48
	scratch_store_b32 off, v0, off offset:64 ; 4-byte Folded Spill
	ds_store_b128 v0, v[117:120] offset:96
	s_and_saveexec_b32 s0, vcc_lo
	s_cbranch_execz .LBB0_11
; %bb.10:
	s_clause 0x1
	scratch_load_b32 v0, off, off offset:60
	scratch_load_b32 v1, off, off offset:40
	v_add_f64 v[70:71], v[70:71], v[88:89]
	v_add_f64 v[68:69], v[68:69], v[92:93]
	s_delay_alu instid0(VALU_DEP_2) | instskip(NEXT) | instid1(VALU_DEP_2)
	v_add_f64 v[70:71], v[70:71], v[74:75]
	v_add_f64 v[68:69], v[68:69], v[72:73]
	s_waitcnt vmcnt(1)
	v_mul_u32_u24_e32 v0, 9, v0
	s_waitcnt vmcnt(0)
	s_delay_alu instid0(VALU_DEP_1)
	v_add_lshl_u32 v0, v0, v1, 4
	ds_store_b128 v0, v[68:71]
	ds_store_b128 v0, v[148:151] offset:48
	ds_store_b128 v0, v[152:155] offset:96
.LBB0_11:
	s_or_b32 exec_lo, exec_lo, s0
	v_mul_lo_u16 v0, v116, 57
	v_mul_lo_u16 v1, v169, 57
	s_waitcnt lgkmcnt(0)
	s_waitcnt_vscnt null, 0x0
	s_barrier
	buffer_gl0_inv
	v_lshrrev_b16 v0, 9, v0
	v_lshrrev_b16 v1, 9, v1
	s_mov_b32 s0, 0x134454ff
	s_mov_b32 s1, 0x3fee6f0e
	;; [unrolled: 1-line block ×3, first 2 shown]
	v_mul_lo_u16 v2, v0, 9
	v_mul_lo_u16 v3, v1, 9
	s_mov_b32 s10, s0
	v_and_b32_e32 v0, 0xffff, v0
	v_and_b32_e32 v1, 0xffff, v1
	v_sub_nc_u16 v2, v232, v2
	v_sub_nc_u16 v3, v168, v3
	s_delay_alu instid0(VALU_DEP_4) | instskip(NEXT) | instid1(VALU_DEP_4)
	v_mul_u32_u24_e32 v0, 45, v0
	v_mul_u32_u24_e32 v1, 45, v1
	s_delay_alu instid0(VALU_DEP_4) | instskip(NEXT) | instid1(VALU_DEP_4)
	v_and_b32_e32 v2, 0xff, v2
	v_and_b32_e32 v3, 0xff, v3
	s_delay_alu instid0(VALU_DEP_2) | instskip(NEXT) | instid1(VALU_DEP_2)
	v_lshlrev_b32_e32 v76, 6, v2
	v_lshlrev_b32_e32 v88, 6, v3
	v_add_lshl_u32 v244, v0, v2, 4
	v_add_lshl_u32 v243, v1, v3, 4
	s_clause 0x7
	global_load_b128 v[80:83], v76, s[2:3] offset:96
	global_load_b128 v[72:75], v76, s[2:3] offset:112
	;; [unrolled: 1-line block ×8, first 2 shown]
	ds_load_b128 v[100:103], v231 offset:2016
	ds_load_b128 v[104:107], v231 offset:4032
	;; [unrolled: 1-line block ×8, first 2 shown]
	s_waitcnt vmcnt(4) lgkmcnt(4)
	v_mul_f64 v[140:141], v[114:115], v[78:79]
	v_mul_f64 v[138:139], v[100:101], v[82:83]
	;; [unrolled: 1-line block ×8, first 2 shown]
	s_waitcnt vmcnt(2) lgkmcnt(2)
	v_mul_f64 v[158:159], v[122:123], v[98:99]
	s_waitcnt vmcnt(1) lgkmcnt(1)
	v_mul_f64 v[160:161], v[126:127], v[94:95]
	v_mul_f64 v[162:163], v[120:121], v[98:99]
	;; [unrolled: 1-line block ×4, first 2 shown]
	s_waitcnt vmcnt(0) lgkmcnt(0)
	v_mul_f64 v[164:165], v[130:131], v[90:91]
	v_mul_f64 v[170:171], v[116:117], v[86:87]
	;; [unrolled: 1-line block ×3, first 2 shown]
	v_fma_f64 v[112:113], v[112:113], v[76:77], -v[140:141]
	v_fma_f64 v[134:135], v[104:105], v[72:73], -v[134:135]
	;; [unrolled: 1-line block ×3, first 2 shown]
	v_fma_f64 v[136:137], v[102:103], v[80:81], v[138:139]
	v_fma_f64 v[138:139], v[106:107], v[72:73], v[142:143]
	v_fma_f64 v[110:111], v[110:111], v[68:69], v[144:145]
	v_fma_f64 v[132:133], v[100:101], v[80:81], -v[132:133]
	v_fma_f64 v[114:115], v[114:115], v[76:77], v[146:147]
	v_fma_f64 v[120:121], v[120:121], v[96:97], -v[158:159]
	v_fma_f64 v[124:125], v[124:125], v[92:93], -v[160:161]
	v_fma_f64 v[122:123], v[122:123], v[96:97], v[162:163]
	v_fma_f64 v[126:127], v[126:127], v[92:93], v[166:167]
	v_fma_f64 v[116:117], v[116:117], v[84:85], -v[156:157]
	v_fma_f64 v[128:129], v[128:129], v[88:89], -v[164:165]
	v_fma_f64 v[118:119], v[118:119], v[84:85], v[170:171]
	v_fma_f64 v[130:131], v[130:131], v[88:89], v[172:173]
	ds_load_b128 v[100:103], v231
	ds_load_b128 v[104:107], v231 offset:1008
	s_waitcnt lgkmcnt(0)
	s_barrier
	buffer_gl0_inv
	v_add_f64 v[140:141], v[134:135], v[108:109]
	v_add_f64 v[172:173], v[102:103], v[136:137]
	v_add_f64 v[188:189], v[136:137], -v[138:139]
	v_add_f64 v[144:145], v[138:139], v[110:111]
	v_add_f64 v[142:143], v[132:133], v[112:113]
	;; [unrolled: 1-line block ×5, first 2 shown]
	v_add_f64 v[166:167], v[136:137], -v[114:115]
	v_add_f64 v[160:161], v[122:123], v[126:127]
	v_add_f64 v[174:175], v[104:105], v[116:117]
	;; [unrolled: 1-line block ×5, first 2 shown]
	v_add_f64 v[178:179], v[132:133], -v[112:113]
	v_add_f64 v[170:171], v[138:139], -v[110:111]
	;; [unrolled: 1-line block ×17, first 2 shown]
	v_fma_f64 v[140:141], v[140:141], -0.5, v[100:101]
	v_add_f64 v[138:139], v[172:173], v[138:139]
	v_fma_f64 v[144:145], v[144:145], -0.5, v[102:103]
	v_fma_f64 v[100:101], v[142:143], -0.5, v[100:101]
	v_add_f64 v[142:143], v[134:135], -v[108:109]
	v_fma_f64 v[102:103], v[146:147], -0.5, v[102:103]
	v_fma_f64 v[156:157], v[156:157], -0.5, v[104:105]
	v_add_f64 v[146:147], v[122:123], -v[126:127]
	;; [unrolled: 3-line block ×3, first 2 shown]
	v_fma_f64 v[106:107], v[162:163], -0.5, v[106:107]
	v_add_f64 v[162:163], v[132:133], -v[134:135]
	v_add_f64 v[132:133], v[134:135], -v[132:133]
	v_add_f64 v[134:135], v[164:165], v[134:135]
	v_add_f64 v[120:121], v[174:175], v[120:121]
	;; [unrolled: 1-line block ×5, first 2 shown]
	v_fma_f64 v[164:165], v[166:167], s[0:1], v[140:141]
	v_fma_f64 v[140:141], v[166:167], s[10:11], v[140:141]
	v_add_f64 v[110:111], v[138:139], v[110:111]
	v_fma_f64 v[174:175], v[178:179], s[10:11], v[144:145]
	v_fma_f64 v[172:173], v[170:171], s[10:11], v[100:101]
	;; [unrolled: 1-line block ×14, first 2 shown]
	s_mov_b32 s0, 0x4755a5e
	s_mov_b32 s1, 0x3fe2cf23
	;; [unrolled: 1-line block ×4, first 2 shown]
	v_add_f64 v[108:109], v[134:135], v[108:109]
	v_add_f64 v[162:163], v[162:163], v[184:185]
	;; [unrolled: 1-line block ×9, first 2 shown]
	v_fma_f64 v[120:121], v[170:171], s[0:1], v[164:165]
	v_fma_f64 v[122:123], v[170:171], s[10:11], v[140:141]
	;; [unrolled: 1-line block ×16, first 2 shown]
	s_mov_b32 s0, 0x372fe950
	s_mov_b32 s1, 0x3fd3c6ef
	v_add_f64 v[102:103], v[110:111], v[114:115]
	v_add_f64 v[100:101], v[108:109], v[112:113]
	;; [unrolled: 1-line block ×4, first 2 shown]
	v_fma_f64 v[116:117], v[162:163], s[0:1], v[120:121]
	v_fma_f64 v[120:121], v[162:163], s[0:1], v[122:123]
	;; [unrolled: 1-line block ×16, first 2 shown]
	v_cmp_gt_u16_e64 s0, 27, v232
                                        ; implicit-def: $vgpr164_vgpr165
	ds_store_b128 v244, v[100:103]
	ds_store_b128 v244, v[116:119] offset:144
	ds_store_b128 v244, v[124:127] offset:288
	;; [unrolled: 1-line block ×4, first 2 shown]
	ds_store_b128 v243, v[104:107]
	ds_store_b128 v243, v[132:135] offset:144
	ds_store_b128 v243, v[156:159] offset:288
	ds_store_b128 v243, v[108:111] offset:432
	ds_store_b128 v243, v[112:115] offset:576
	s_waitcnt lgkmcnt(0)
	s_barrier
	buffer_gl0_inv
	ds_load_b128 v[160:163], v231
	ds_load_b128 v[136:139], v231 offset:1440
	ds_load_b128 v[132:135], v231 offset:2880
	;; [unrolled: 1-line block ×6, first 2 shown]
                                        ; implicit-def: $vgpr120_vgpr121
	s_and_saveexec_b32 s1, s0
	s_cbranch_execz .LBB0_13
; %bb.12:
	ds_load_b128 v[156:159], v231 offset:1008
	ds_load_b128 v[108:111], v231 offset:2448
	;; [unrolled: 1-line block ×7, first 2 shown]
.LBB0_13:
	s_or_b32 exec_lo, exec_lo, s1
	v_subrev_nc_u32_e32 v0, 45, v232
	v_cmp_gt_u16_e64 s1, 45, v232
	s_mov_b32 s10, 0x36b3c0b5
	s_mov_b32 s26, 0xe976ee23
	s_mov_b32 s11, 0x3fac98ee
	s_mov_b32 s27, 0xbfe11646
	v_cndmask_b32_e64 v170, v0, v232, s1
	s_mov_b32 s24, 0xaaaaaaaa
	s_mov_b32 s14, 0x429ad128
	;; [unrolled: 1-line block ×4, first 2 shown]
	v_mul_i32_i24_e32 v0, 0x60, v170
	v_mul_hi_i32_i24_e32 v1, 0x60, v170
	s_mov_b32 s15, 0x3febfeb5
	s_mov_b32 s29, 0x3fe77f67
	;; [unrolled: 1-line block ×3, first 2 shown]
	v_add_co_u32 v144, s1, s2, v0
	s_delay_alu instid0(VALU_DEP_1)
	v_add_co_ci_u32_e64 v145, s1, s3, v1, s1
	v_mul_lo_u16 v0, 0x6d, v169
	s_mov_b32 s13, 0x3fdc38aa
	s_clause 0x1
	global_load_b128 v[124:127], v[144:145], off offset:672
	global_load_b128 v[128:131], v[144:145], off offset:688
	s_mov_b32 s16, 0x37e14327
	v_lshrrev_b16 v0, 8, v0
	s_mov_b32 s17, 0x3fe948f6
	s_mov_b32 s20, 0xb247c609
	;; [unrolled: 1-line block ×4, first 2 shown]
	v_sub_nc_u16 v1, v168, v0
	s_mov_b32 s23, 0xbfd5d0dc
	s_mov_b32 s22, s20
	;; [unrolled: 1-line block ×3, first 2 shown]
	v_cmp_lt_u16_e64 s1, 44, v232
	v_lshrrev_b16 v1, 1, v1
	s_delay_alu instid0(VALU_DEP_1) | instskip(NEXT) | instid1(VALU_DEP_1)
	v_and_b32_e32 v1, 0x7f, v1
	v_add_nc_u16 v0, v1, v0
	s_delay_alu instid0(VALU_DEP_1) | instskip(NEXT) | instid1(VALU_DEP_1)
	v_lshrrev_b16 v0, 5, v0
	v_mul_lo_u16 v0, v0, 45
	s_delay_alu instid0(VALU_DEP_1) | instskip(NEXT) | instid1(VALU_DEP_1)
	v_sub_nc_u16 v0, v168, v0
	v_and_b32_e32 v0, 0xff, v0
	s_delay_alu instid0(VALU_DEP_1) | instskip(SKIP_2) | instid1(VALU_DEP_1)
	v_mad_u64_u32 v[168:169], null, 0x60, v0, s[2:3]
	s_waitcnt vmcnt(1) lgkmcnt(5)
	v_mul_f64 v[146:147], v[138:139], v[126:127]
	v_fma_f64 v[171:172], v[136:137], v[124:125], -v[146:147]
	v_mul_f64 v[136:137], v[136:137], v[126:127]
	s_delay_alu instid0(VALU_DEP_1) | instskip(SKIP_2) | instid1(VALU_DEP_1)
	v_fma_f64 v[173:174], v[138:139], v[124:125], v[136:137]
	s_waitcnt vmcnt(0) lgkmcnt(4)
	v_mul_f64 v[136:137], v[134:135], v[130:131]
	v_fma_f64 v[175:176], v[132:133], v[128:129], -v[136:137]
	v_mul_f64 v[132:133], v[132:133], v[130:131]
	s_delay_alu instid0(VALU_DEP_1)
	v_fma_f64 v[177:178], v[134:135], v[128:129], v[132:133]
	s_clause 0x1
	global_load_b128 v[132:135], v[144:145], off offset:752
	global_load_b128 v[136:139], v[144:145], off offset:736
	s_waitcnt vmcnt(1) lgkmcnt(0)
	v_mul_f64 v[146:147], v[142:143], v[134:135]
	s_delay_alu instid0(VALU_DEP_1) | instskip(SKIP_1) | instid1(VALU_DEP_1)
	v_fma_f64 v[179:180], v[140:141], v[132:133], -v[146:147]
	v_mul_f64 v[140:141], v[140:141], v[134:135]
	v_fma_f64 v[181:182], v[142:143], v[132:133], v[140:141]
	s_waitcnt vmcnt(0)
	v_mul_f64 v[140:141], v[118:119], v[138:139]
	s_delay_alu instid0(VALU_DEP_2) | instskip(NEXT) | instid1(VALU_DEP_2)
	v_add_f64 v[221:222], v[173:174], v[181:182]
	v_fma_f64 v[183:184], v[116:117], v[136:137], -v[140:141]
	s_clause 0x1
	global_load_b128 v[140:143], v[144:145], off offset:704
	global_load_b128 v[144:147], v[144:145], off offset:720
	v_mul_f64 v[116:117], v[116:117], v[138:139]
	scratch_store_b32 off, v0, off offset:44 ; 4-byte Folded Spill
	v_add_f64 v[173:174], v[173:174], -v[181:182]
	v_fma_f64 v[185:186], v[118:119], v[136:137], v[116:117]
	s_delay_alu instid0(VALU_DEP_1) | instskip(SKIP_2) | instid1(VALU_DEP_1)
	v_add_f64 v[233:234], v[177:178], v[185:186]
	s_waitcnt vmcnt(1)
	v_mul_f64 v[116:117], v[106:107], v[142:143]
	v_fma_f64 v[187:188], v[104:105], v[140:141], -v[116:117]
	v_mul_f64 v[104:105], v[104:105], v[142:143]
	s_delay_alu instid0(VALU_DEP_1) | instskip(SKIP_2) | instid1(VALU_DEP_1)
	v_fma_f64 v[189:190], v[106:107], v[140:141], v[104:105]
	s_waitcnt vmcnt(0)
	v_mul_f64 v[104:105], v[102:103], v[146:147]
	v_fma_f64 v[191:192], v[100:101], v[144:145], -v[104:105]
	v_mul_f64 v[100:101], v[100:101], v[146:147]
	s_delay_alu instid0(VALU_DEP_2) | instskip(NEXT) | instid1(VALU_DEP_2)
	v_add_f64 v[217:218], v[187:188], v[191:192]
	v_fma_f64 v[193:194], v[102:103], v[144:145], v[100:101]
	s_clause 0x1
	global_load_b128 v[100:103], v[168:169], off offset:672
	global_load_b128 v[104:107], v[168:169], off offset:688
	v_add_f64 v[235:236], v[189:190], v[193:194]
	s_delay_alu instid0(VALU_DEP_1) | instskip(NEXT) | instid1(VALU_DEP_1)
	v_add_f64 v[2:3], v[221:222], -v[235:236]
	v_mul_f64 v[2:3], v[2:3], s[16:17]
	s_waitcnt vmcnt(1)
	v_mul_f64 v[116:117], v[110:111], v[102:103]
	s_delay_alu instid0(VALU_DEP_1) | instskip(SKIP_1) | instid1(VALU_DEP_1)
	v_fma_f64 v[195:196], v[108:109], v[100:101], -v[116:117]
	v_mul_f64 v[108:109], v[108:109], v[102:103]
	v_fma_f64 v[197:198], v[110:111], v[100:101], v[108:109]
	s_waitcnt vmcnt(0)
	v_mul_f64 v[108:109], v[114:115], v[106:107]
	s_delay_alu instid0(VALU_DEP_1) | instskip(SKIP_1) | instid1(VALU_DEP_1)
	v_fma_f64 v[199:200], v[112:113], v[104:105], -v[108:109]
	v_mul_f64 v[108:109], v[112:113], v[106:107]
	v_fma_f64 v[201:202], v[114:115], v[104:105], v[108:109]
	s_clause 0x1
	global_load_b128 v[108:111], v[168:169], off offset:752
	global_load_b128 v[112:115], v[168:169], off offset:736
	s_waitcnt vmcnt(1)
	v_mul_f64 v[116:117], v[166:167], v[110:111]
	s_delay_alu instid0(VALU_DEP_1) | instskip(SKIP_1) | instid1(VALU_DEP_2)
	v_fma_f64 v[203:204], v[164:165], v[108:109], -v[116:117]
	v_mul_f64 v[116:117], v[164:165], v[110:111]
	v_add_f64 v[239:240], v[195:196], v[203:204]
	s_delay_alu instid0(VALU_DEP_2) | instskip(SKIP_3) | instid1(VALU_DEP_3)
	v_fma_f64 v[205:206], v[166:167], v[108:109], v[116:117]
	s_waitcnt vmcnt(0)
	v_mul_f64 v[116:117], v[122:123], v[114:115]
	v_add_f64 v[166:167], v[175:176], v[183:184]
	v_add_f64 v[251:252], v[197:198], v[205:206]
	s_delay_alu instid0(VALU_DEP_3) | instskip(SKIP_1) | instid1(VALU_DEP_2)
	v_fma_f64 v[207:208], v[120:121], v[112:113], -v[116:117]
	v_mul_f64 v[116:117], v[120:121], v[114:115]
	v_add_f64 v[245:246], v[199:200], v[207:208]
	s_delay_alu instid0(VALU_DEP_2)
	v_fma_f64 v[209:210], v[122:123], v[112:113], v[116:117]
	s_clause 0x1
	global_load_b128 v[116:119], v[168:169], off offset:704
	global_load_b128 v[120:123], v[168:169], off offset:720
	s_waitcnt vmcnt(0)
	s_waitcnt_vscnt null, 0x0
	s_barrier
	buffer_gl0_inv
	v_add_f64 v[253:254], v[201:202], v[209:210]
	v_mul_f64 v[164:165], v[150:151], v[118:119]
	s_delay_alu instid0(VALU_DEP_1) | instskip(SKIP_3) | instid1(VALU_DEP_3)
	v_fma_f64 v[168:169], v[148:149], v[116:117], -v[164:165]
	v_mul_f64 v[148:149], v[148:149], v[118:119]
	v_add_f64 v[164:165], v[171:172], v[179:180]
	v_add_f64 v[171:172], v[171:172], -v[179:180]
	v_fma_f64 v[211:212], v[150:151], v[116:117], v[148:149]
	v_mul_f64 v[148:149], v[154:155], v[122:123]
	s_delay_alu instid0(VALU_DEP_1) | instskip(SKIP_1) | instid1(VALU_DEP_2)
	v_fma_f64 v[213:214], v[152:153], v[120:121], -v[148:149]
	v_mul_f64 v[148:149], v[152:153], v[122:123]
	v_add_f64 v[247:248], v[168:169], v[213:214]
	s_delay_alu instid0(VALU_DEP_2) | instskip(SKIP_1) | instid1(VALU_DEP_2)
	v_fma_f64 v[215:216], v[154:155], v[120:121], v[148:149]
	v_add_f64 v[148:149], v[166:167], v[164:165]
	v_add_f64 v[229:230], v[211:212], v[215:216]
	s_delay_alu instid0(VALU_DEP_2) | instskip(SKIP_1) | instid1(VALU_DEP_2)
	v_add_f64 v[219:220], v[217:218], v[148:149]
	v_add_f64 v[148:149], v[233:234], v[221:222]
	;; [unrolled: 1-line block ×3, first 2 shown]
	s_delay_alu instid0(VALU_DEP_2) | instskip(SKIP_1) | instid1(VALU_DEP_3)
	v_add_f64 v[237:238], v[235:236], v[148:149]
	v_add_f64 v[148:149], v[245:246], v[239:240]
	v_fma_f64 v[219:220], v[219:220], s[24:25], v[152:153]
	s_delay_alu instid0(VALU_DEP_3) | instskip(NEXT) | instid1(VALU_DEP_3)
	v_add_f64 v[154:155], v[162:163], v[237:238]
	v_add_f64 v[249:250], v[247:248], v[148:149]
	v_add_f64 v[148:149], v[253:254], v[251:252]
	s_delay_alu instid0(VALU_DEP_3) | instskip(NEXT) | instid1(VALU_DEP_2)
	v_fma_f64 v[237:238], v[237:238], s[24:25], v[154:155]
	v_add_f64 v[241:242], v[229:230], v[148:149]
	s_delay_alu instid0(VALU_DEP_4)
	v_add_f64 v[148:149], v[156:157], v[249:250]
	v_add_f64 v[156:157], v[175:176], -v[183:184]
	v_add_f64 v[175:176], v[191:192], -v[187:188]
	;; [unrolled: 1-line block ×5, first 2 shown]
	v_add_f64 v[150:151], v[158:159], v[241:242]
	v_add_f64 v[158:159], v[177:178], -v[185:186]
	v_add_f64 v[177:178], v[193:194], -v[189:190]
	;; [unrolled: 1-line block ×5, first 2 shown]
	v_add_f64 v[156:157], v[175:176], v[156:157]
	v_add_f64 v[175:176], v[171:172], -v[175:176]
	v_add_f64 v[181:182], v[158:159], -v[173:174]
	;; [unrolled: 1-line block ×3, first 2 shown]
	v_add_f64 v[158:159], v[177:178], v[158:159]
	v_mul_f64 v[189:190], v[160:161], s[26:27]
	v_add_f64 v[177:178], v[173:174], -v[177:178]
	v_add_f64 v[193:194], v[156:157], v[171:172]
	v_mul_f64 v[156:157], v[183:184], s[10:11]
	v_mul_f64 v[171:172], v[181:182], s[14:15]
	;; [unrolled: 1-line block ×3, first 2 shown]
	v_add_f64 v[233:234], v[158:159], v[173:174]
	v_mul_f64 v[158:159], v[185:186], s[10:11]
	v_fma_f64 v[160:161], v[179:180], s[14:15], -v[189:190]
	v_fma_f64 v[173:174], v[187:188], s[18:19], -v[2:3]
	v_fma_f64 v[2:3], v[185:186], s[10:11], v[2:3]
	v_fma_f64 v[156:157], v[166:167], s[28:29], -v[156:157]
	v_fma_f64 v[171:172], v[177:178], s[22:23], -v[171:172]
	v_fma_f64 v[177:178], v[177:178], s[20:21], v[191:192]
	v_fma_f64 v[158:159], v[187:188], s[28:29], -v[158:159]
	v_fma_f64 v[162:163], v[193:194], s[12:13], v[160:161]
	v_fma_f64 v[160:161], v[181:182], s[14:15], -v[191:192]
	v_add_f64 v[2:3], v[2:3], v[237:238]
	v_add_f64 v[173:174], v[173:174], v[237:238]
	;; [unrolled: 1-line block ×3, first 2 shown]
	v_fma_f64 v[171:172], v[233:234], s[12:13], v[171:172]
	v_fma_f64 v[177:178], v[233:234], s[12:13], v[177:178]
	v_add_f64 v[0:1], v[158:159], v[237:238]
	v_fma_f64 v[160:161], v[233:234], s[12:13], v[160:161]
	s_delay_alu instid0(VALU_DEP_2)
	v_add_f64 v[158:159], v[162:163], v[0:1]
	v_add_f64 v[162:163], v[0:1], -v[162:163]
	v_add_f64 v[0:1], v[164:165], -v[217:218]
	v_mul_f64 v[164:165], v[179:180], s[14:15]
	v_add_f64 v[156:157], v[226:227], -v[160:161]
	v_add_f64 v[160:161], v[160:161], v[226:227]
	s_delay_alu instid0(VALU_DEP_4) | instskip(NEXT) | instid1(VALU_DEP_4)
	v_mul_f64 v[0:1], v[0:1], s[16:17]
	v_fma_f64 v[164:165], v[175:176], s[22:23], -v[164:165]
	v_fma_f64 v[175:176], v[175:176], s[20:21], v[189:190]
	s_delay_alu instid0(VALU_DEP_3) | instskip(SKIP_1) | instid1(VALU_DEP_3)
	v_fma_f64 v[166:167], v[166:167], s[18:19], -v[0:1]
	v_fma_f64 v[0:1], v[183:184], s[10:11], v[0:1]
	v_fma_f64 v[175:176], v[193:194], s[12:13], v[175:176]
	;; [unrolled: 1-line block ×3, first 2 shown]
	v_add_f64 v[192:193], v[215:216], -v[211:212]
	v_fma_f64 v[216:217], v[241:242], s[24:25], v[150:151]
	v_add_f64 v[181:182], v[166:167], v[219:220]
	v_add_f64 v[0:1], v[0:1], v[219:220]
	v_add_f64 v[186:187], v[2:3], -v[175:176]
	v_add_f64 v[190:191], v[175:176], v[2:3]
	v_add_f64 v[2:3], v[213:214], -v[168:169]
	v_add_f64 v[168:169], v[195:196], -v[203:204]
	;; [unrolled: 1-line block ×5, first 2 shown]
	v_add_f64 v[173:174], v[179:180], v[173:174]
	v_add_f64 v[202:203], v[245:246], -v[239:240]
	v_fma_f64 v[214:215], v[249:250], s[24:25], v[148:149]
	v_add_f64 v[204:205], v[229:230], -v[253:254]
	v_add_f64 v[164:165], v[171:172], v[181:182]
	v_add_f64 v[184:185], v[177:178], v[0:1]
	v_add_f64 v[188:189], v[0:1], -v[177:178]
	v_add_f64 v[0:1], v[199:200], -v[207:208]
	;; [unrolled: 1-line block ×6, first 2 shown]
	v_add_f64 v[175:176], v[192:193], v[175:176]
	v_add_f64 v[206:207], v[253:254], -v[251:252]
	v_add_f64 v[177:178], v[2:3], -v[0:1]
	;; [unrolled: 1-line block ×3, first 2 shown]
	v_add_f64 v[0:1], v[2:3], v[0:1]
	v_add_f64 v[2:3], v[168:169], -v[2:3]
	v_mul_f64 v[210:211], v[179:180], s[26:27]
	v_add_f64 v[212:213], v[175:176], v[194:195]
	v_mul_f64 v[175:176], v[200:201], s[10:11]
	v_mul_f64 v[208:209], v[177:178], s[26:27]
	;; [unrolled: 1-line block ×3, first 2 shown]
	v_add_f64 v[0:1], v[0:1], v[168:169]
	s_delay_alu instid0(VALU_DEP_4) | instskip(NEXT) | instid1(VALU_DEP_4)
	v_fma_f64 v[175:176], v[202:203], s[28:29], -v[175:176]
	v_fma_f64 v[179:180], v[196:197], s[14:15], -v[208:209]
	s_delay_alu instid0(VALU_DEP_4) | instskip(NEXT) | instid1(VALU_DEP_3)
	v_fma_f64 v[177:178], v[206:207], s[28:29], -v[177:178]
	v_add_f64 v[218:219], v[175:176], v[214:215]
	v_cndmask_b32_e64 v175, 0, 0x13b, s1
	s_delay_alu instid0(VALU_DEP_1)
	v_add_lshl_u32 v245, v170, v175, 4
	ds_store_b128 v245, v[152:155]
	ds_store_b128 v245, v[184:187] offset:720
	ds_store_b128 v245, v[164:167] offset:1440
	;; [unrolled: 1-line block ×6, first 2 shown]
	v_add_f64 v[152:153], v[239:240], -v[247:248]
	v_add_f64 v[154:155], v[251:252], -v[229:230]
	v_mul_f64 v[158:159], v[196:197], s[14:15]
	v_add_f64 v[156:157], v[194:195], -v[192:193]
	v_fma_f64 v[160:161], v[2:3], s[20:21], v[208:209]
	v_fma_f64 v[182:183], v[0:1], s[12:13], v[179:180]
	v_fma_f64 v[179:180], v[198:199], s[14:15], -v[210:211]
	v_add_f64 v[220:221], v[177:178], v[216:217]
	v_mul_f64 v[152:153], v[152:153], s[16:17]
	v_fma_f64 v[2:3], v[2:3], s[22:23], -v[158:159]
	v_mul_f64 v[158:159], v[198:199], s[14:15]
	v_fma_f64 v[162:163], v[156:157], s[20:21], v[210:211]
	v_fma_f64 v[180:181], v[212:213], s[12:13], v[179:180]
	v_add_f64 v[178:179], v[182:183], v[220:221]
	v_add_f64 v[182:183], v[220:221], -v[182:183]
	v_fma_f64 v[164:165], v[202:203], s[18:19], -v[152:153]
	v_fma_f64 v[166:167], v[200:201], s[10:11], v[152:153]
	v_mul_f64 v[152:153], v[154:155], s[16:17]
	v_fma_f64 v[156:157], v[156:157], s[22:23], -v[158:159]
	v_fma_f64 v[158:159], v[0:1], s[12:13], v[160:161]
	v_fma_f64 v[168:169], v[0:1], s[12:13], v[2:3]
	v_add_f64 v[176:177], v[218:219], -v[180:181]
	v_add_f64 v[180:181], v[180:181], v[218:219]
	v_add_f64 v[160:161], v[166:167], v[214:215]
	v_fma_f64 v[170:171], v[206:207], s[18:19], -v[152:153]
	v_fma_f64 v[172:173], v[204:205], s[10:11], v[152:153]
	v_fma_f64 v[152:153], v[212:213], s[12:13], v[162:163]
	;; [unrolled: 1-line block ×3, first 2 shown]
	v_add_f64 v[156:157], v[164:165], v[214:215]
	v_add_f64 v[170:171], v[170:171], v[216:217]
	;; [unrolled: 1-line block ×3, first 2 shown]
	v_add_f64 v[172:173], v[160:161], -v[152:153]
	s_delay_alu instid0(VALU_DEP_4) | instskip(NEXT) | instid1(VALU_DEP_4)
	v_add_f64 v[164:165], v[156:157], -v[154:155]
	v_add_f64 v[166:167], v[168:169], v[170:171]
	s_delay_alu instid0(VALU_DEP_4)
	v_add_f64 v[174:175], v[158:159], v[162:163]
	s_and_saveexec_b32 s1, s0
	s_cbranch_execz .LBB0_15
; %bb.14:
	scratch_load_b32 v0, off, off offset:44 ; 4-byte Folded Reload
	v_add_f64 v[162:163], v[162:163], -v[158:159]
	v_add_f64 v[160:161], v[152:153], v[160:161]
	v_add_f64 v[170:171], v[170:171], -v[168:169]
	v_add_f64 v[168:169], v[154:155], v[156:157]
	s_waitcnt vmcnt(0)
	v_lshlrev_b32_e32 v0, 4, v0
	ds_store_b128 v0, v[180:183] offset:7920
	ds_store_b128 v0, v[164:167] offset:8640
	;; [unrolled: 1-line block ×7, first 2 shown]
.LBB0_15:
	s_or_b32 exec_lo, exec_lo, s1
	v_add_co_u32 v196, s1, s2, v231
	s_delay_alu instid0(VALU_DEP_1) | instskip(SKIP_1) | instid1(VALU_DEP_2)
	v_add_co_ci_u32_e64 v197, null, s3, 0, s1
	s_waitcnt lgkmcnt(0)
	v_add_co_u32 v0, s1, 0x1000, v196
	s_delay_alu instid0(VALU_DEP_1)
	v_add_co_ci_u32_e64 v1, s1, 0, v197, s1
	s_barrier
	buffer_gl0_inv
	s_clause 0x3
	global_load_b128 v[148:151], v[0:1], off offset:896
	global_load_b128 v[152:155], v[0:1], off offset:1904
	;; [unrolled: 1-line block ×4, first 2 shown]
	ds_load_b128 v[168:171], v231 offset:5040
	ds_load_b128 v[188:191], v231 offset:4032
	;; [unrolled: 1-line block ×4, first 2 shown]
	s_waitcnt vmcnt(3) lgkmcnt(3)
	v_mul_f64 v[0:1], v[170:171], v[150:151]
	v_mul_f64 v[2:3], v[168:169], v[150:151]
	s_delay_alu instid0(VALU_DEP_2) | instskip(NEXT) | instid1(VALU_DEP_2)
	v_fma_f64 v[0:1], v[168:169], v[148:149], -v[0:1]
	v_fma_f64 v[2:3], v[170:171], v[148:149], v[2:3]
	s_waitcnt vmcnt(2) lgkmcnt(1)
	v_mul_f64 v[168:169], v[186:187], v[154:155]
	v_mul_f64 v[170:171], v[184:185], v[154:155]
	s_delay_alu instid0(VALU_DEP_2) | instskip(NEXT) | instid1(VALU_DEP_2)
	v_fma_f64 v[204:205], v[184:185], v[152:153], -v[168:169]
	v_fma_f64 v[206:207], v[186:187], v[152:153], v[170:171]
	;; [unrolled: 6-line block ×3, first 2 shown]
	ds_load_b128 v[168:171], v231 offset:8064
	ds_load_b128 v[184:187], v231 offset:9072
	s_waitcnt vmcnt(0) lgkmcnt(1)
	v_mul_f64 v[192:193], v[170:171], v[162:163]
	s_delay_alu instid0(VALU_DEP_1) | instskip(SKIP_1) | instid1(VALU_DEP_1)
	v_fma_f64 v[220:221], v[168:169], v[160:161], -v[192:193]
	v_mul_f64 v[168:169], v[168:169], v[162:163]
	v_fma_f64 v[222:223], v[170:171], v[160:161], v[168:169]
	v_add_co_u32 v168, s1, 0x2000, v196
	s_delay_alu instid0(VALU_DEP_1) | instskip(SKIP_3) | instid1(VALU_DEP_1)
	v_add_co_ci_u32_e64 v169, s1, 0, v197, s1
	global_load_b128 v[168:171], v[168:169], off offset:832
	s_waitcnt vmcnt(0) lgkmcnt(0)
	v_mul_f64 v[192:193], v[186:187], v[170:171]
	v_fma_f64 v[226:227], v[184:185], v[168:169], -v[192:193]
	v_mul_f64 v[184:185], v[184:185], v[170:171]
	s_delay_alu instid0(VALU_DEP_1)
	v_fma_f64 v[229:230], v[186:187], v[168:169], v[184:185]
	ds_load_b128 v[184:187], v231
	ds_load_b128 v[192:195], v231 offset:1008
	s_waitcnt lgkmcnt(1)
	v_add_f64 v[196:197], v[184:185], -v[0:1]
	v_add_f64 v[198:199], v[186:187], -v[2:3]
	s_waitcnt lgkmcnt(0)
	v_add_f64 v[204:205], v[192:193], -v[204:205]
	v_add_f64 v[206:207], v[194:195], -v[206:207]
	s_delay_alu instid0(VALU_DEP_4) | instskip(NEXT) | instid1(VALU_DEP_4)
	v_fma_f64 v[200:201], v[184:185], 2.0, -v[196:197]
	v_fma_f64 v[202:203], v[186:187], 2.0, -v[198:199]
	ds_load_b128 v[184:187], v231 offset:2016
	ds_load_b128 v[208:211], v231 offset:3024
	v_fma_f64 v[192:193], v[192:193], 2.0, -v[204:205]
	v_fma_f64 v[194:195], v[194:195], 2.0, -v[206:207]
	s_waitcnt lgkmcnt(1)
	v_add_f64 v[212:213], v[184:185], -v[212:213]
	v_add_f64 v[214:215], v[186:187], -v[214:215]
	s_waitcnt lgkmcnt(0)
	v_add_f64 v[220:221], v[208:209], -v[220:221]
	v_add_f64 v[222:223], v[210:211], -v[222:223]
	s_delay_alu instid0(VALU_DEP_4) | instskip(NEXT) | instid1(VALU_DEP_4)
	v_fma_f64 v[216:217], v[184:185], 2.0, -v[212:213]
	v_fma_f64 v[218:219], v[186:187], 2.0, -v[214:215]
	v_add_f64 v[184:185], v[188:189], -v[226:227]
	v_add_f64 v[186:187], v[190:191], -v[229:230]
	v_fma_f64 v[208:209], v[208:209], 2.0, -v[220:221]
	v_fma_f64 v[210:211], v[210:211], 2.0, -v[222:223]
	s_delay_alu instid0(VALU_DEP_4) | instskip(NEXT) | instid1(VALU_DEP_4)
	v_fma_f64 v[188:189], v[188:189], 2.0, -v[184:185]
	v_fma_f64 v[190:191], v[190:191], 2.0, -v[186:187]
	ds_store_b128 v231, v[204:207] offset:6048
	ds_store_b128 v231, v[212:215] offset:7056
	ds_store_b128 v231, v[200:203]
	ds_store_b128 v231, v[192:195] offset:1008
	ds_store_b128 v231, v[216:219] offset:2016
	;; [unrolled: 1-line block ×7, first 2 shown]
	s_waitcnt lgkmcnt(0)
	s_barrier
	buffer_gl0_inv
	scratch_load_b64 v[0:1], off, off       ; 8-byte Folded Reload
	s_waitcnt vmcnt(0)
	global_load_b128 v[188:191], v[0:1], off offset:1888
	ds_load_b128 v[192:195], v231
	ds_load_b128 v[196:199], v231 offset:1008
	s_waitcnt vmcnt(0) lgkmcnt(1)
	v_mul_f64 v[0:1], v[194:195], v[190:191]
	v_mul_f64 v[2:3], v[192:193], v[190:191]
	s_delay_alu instid0(VALU_DEP_2) | instskip(NEXT) | instid1(VALU_DEP_2)
	v_fma_f64 v[190:191], v[192:193], v[188:189], -v[0:1]
	v_fma_f64 v[192:193], v[194:195], v[188:189], v[2:3]
	v_add_co_u32 v188, s1, 0x2760, v224
	s_delay_alu instid0(VALU_DEP_1) | instskip(SKIP_1) | instid1(VALU_DEP_1)
	v_add_co_ci_u32_e64 v189, s1, 0, v225, s1
	v_add_co_u32 v0, s1, 0x4000, v224
	v_add_co_ci_u32_e64 v1, s1, 0, v225, s1
	s_clause 0x1
	global_load_b128 v[200:203], v[188:189], off offset:3360
	global_load_b128 v[204:207], v[0:1], off offset:416
	ds_load_b128 v[208:211], v231 offset:3360
	ds_load_b128 v[212:215], v231 offset:2016
	s_waitcnt vmcnt(1) lgkmcnt(1)
	v_mul_f64 v[2:3], v[210:211], v[202:203]
	v_mul_f64 v[194:195], v[208:209], v[202:203]
	s_delay_alu instid0(VALU_DEP_2) | instskip(NEXT) | instid1(VALU_DEP_2)
	v_fma_f64 v[208:209], v[208:209], v[200:201], -v[2:3]
	v_fma_f64 v[210:211], v[210:211], v[200:201], v[194:195]
	ds_load_b128 v[200:203], v231 offset:6720
	ds_load_b128 v[216:219], v231 offset:7728
	s_waitcnt vmcnt(0) lgkmcnt(1)
	v_mul_f64 v[2:3], v[202:203], v[206:207]
	v_mul_f64 v[194:195], v[200:201], v[206:207]
	s_delay_alu instid0(VALU_DEP_2) | instskip(NEXT) | instid1(VALU_DEP_2)
	v_fma_f64 v[200:201], v[200:201], v[204:205], -v[2:3]
	v_fma_f64 v[202:203], v[202:203], v[204:205], v[194:195]
	s_clause 0x1
	global_load_b128 v[204:207], v[188:189], off offset:1008
	global_load_b128 v[220:223], v[188:189], off offset:2016
	s_waitcnt vmcnt(1)
	v_mul_f64 v[2:3], v[198:199], v[206:207]
	v_mul_f64 v[206:207], v[196:197], v[206:207]
	s_delay_alu instid0(VALU_DEP_2) | instskip(SKIP_1) | instid1(VALU_DEP_1)
	v_fma_f64 v[194:195], v[196:197], v[204:205], -v[2:3]
	v_add_co_u32 v2, s1, 0x3000, v224
	v_add_co_ci_u32_e64 v3, s1, 0, v225, s1
	s_delay_alu instid0(VALU_DEP_4)
	v_fma_f64 v[196:197], v[198:199], v[204:205], v[206:207]
	s_clause 0x1
	global_load_b128 v[204:207], v[2:3], off offset:2160
	global_load_b128 v[246:249], v[2:3], off offset:3168
	ds_load_b128 v[250:253], v231 offset:4368
	ds_load_b128 v[233:236], v231 offset:5376
	s_waitcnt vmcnt(1) lgkmcnt(1)
	v_mul_f64 v[2:3], v[252:253], v[206:207]
	v_mul_f64 v[198:199], v[250:251], v[206:207]
	s_delay_alu instid0(VALU_DEP_2) | instskip(NEXT) | instid1(VALU_DEP_2)
	v_fma_f64 v[250:251], v[250:251], v[204:205], -v[2:3]
	v_fma_f64 v[252:253], v[252:253], v[204:205], v[198:199]
	s_clause 0x1
	global_load_b128 v[204:207], v[0:1], off offset:1424
	global_load_b128 v[237:240], v[0:1], off offset:2432
	s_waitcnt vmcnt(1)
	v_mul_f64 v[0:1], v[218:219], v[206:207]
	v_mul_f64 v[2:3], v[216:217], v[206:207]
	s_delay_alu instid0(VALU_DEP_2) | instskip(NEXT) | instid1(VALU_DEP_2)
	v_fma_f64 v[216:217], v[216:217], v[204:205], -v[0:1]
	v_fma_f64 v[218:219], v[218:219], v[204:205], v[2:3]
	v_mul_f64 v[0:1], v[214:215], v[222:223]
	v_mul_f64 v[2:3], v[212:213], v[222:223]
	s_delay_alu instid0(VALU_DEP_2) | instskip(NEXT) | instid1(VALU_DEP_2)
	v_fma_f64 v[204:205], v[212:213], v[220:221], -v[0:1]
	v_fma_f64 v[206:207], v[214:215], v[220:221], v[2:3]
	s_waitcnt lgkmcnt(0)
	v_mul_f64 v[0:1], v[235:236], v[248:249]
	v_mul_f64 v[2:3], v[233:234], v[248:249]
	ds_load_b128 v[220:223], v231 offset:8736
	v_fma_f64 v[212:213], v[233:234], v[246:247], -v[0:1]
	v_fma_f64 v[214:215], v[235:236], v[246:247], v[2:3]
	s_waitcnt vmcnt(0) lgkmcnt(0)
	v_mul_f64 v[0:1], v[222:223], v[239:240]
	v_mul_f64 v[2:3], v[220:221], v[239:240]
	s_delay_alu instid0(VALU_DEP_2) | instskip(NEXT) | instid1(VALU_DEP_2)
	v_fma_f64 v[220:221], v[220:221], v[237:238], -v[0:1]
	v_fma_f64 v[222:223], v[222:223], v[237:238], v[2:3]
	ds_store_b128 v231, v[190:193]
	ds_store_b128 v231, v[194:197] offset:1008
	ds_store_b128 v231, v[200:203] offset:6720
	;; [unrolled: 1-line block ×8, first 2 shown]
	s_and_saveexec_b32 s2, vcc_lo
	s_cbranch_execz .LBB0_17
; %bb.16:
	v_add_co_u32 v0, s1, 0x1000, v188
	s_delay_alu instid0(VALU_DEP_1) | instskip(SKIP_1) | instid1(VALU_DEP_1)
	v_add_co_ci_u32_e64 v1, s1, 0, v189, s1
	v_add_co_u32 v2, s1, 0x2000, v188
	v_add_co_ci_u32_e64 v3, s1, 0, v189, s1
	s_clause 0x2
	global_load_b128 v[188:191], v[188:189], off offset:3024
	global_load_b128 v[192:195], v[0:1], off offset:2288
	;; [unrolled: 1-line block ×3, first 2 shown]
	ds_load_b128 v[200:203], v231 offset:3024
	ds_load_b128 v[204:207], v231 offset:6384
	;; [unrolled: 1-line block ×3, first 2 shown]
	s_waitcnt vmcnt(2) lgkmcnt(2)
	v_mul_f64 v[0:1], v[202:203], v[190:191]
	v_mul_f64 v[2:3], v[200:201], v[190:191]
	s_waitcnt vmcnt(1) lgkmcnt(1)
	v_mul_f64 v[190:191], v[206:207], v[194:195]
	v_mul_f64 v[194:195], v[204:205], v[194:195]
	;; [unrolled: 3-line block ×3, first 2 shown]
	v_fma_f64 v[198:199], v[200:201], v[188:189], -v[0:1]
	v_fma_f64 v[200:201], v[202:203], v[188:189], v[2:3]
	v_fma_f64 v[188:189], v[204:205], v[192:193], -v[190:191]
	v_fma_f64 v[190:191], v[206:207], v[192:193], v[194:195]
	;; [unrolled: 2-line block ×3, first 2 shown]
	ds_store_b128 v231, v[198:201] offset:3024
	ds_store_b128 v231, v[188:191] offset:6384
	;; [unrolled: 1-line block ×3, first 2 shown]
.LBB0_17:
	s_or_b32 exec_lo, exec_lo, s2
	s_waitcnt lgkmcnt(0)
	s_barrier
	buffer_gl0_inv
	ds_load_b128 v[196:199], v231
	ds_load_b128 v[188:191], v231 offset:1008
	ds_load_b128 v[216:219], v231 offset:6720
	;; [unrolled: 1-line block ×8, first 2 shown]
	s_and_saveexec_b32 s1, vcc_lo
	s_cbranch_execz .LBB0_19
; %bb.18:
	ds_load_b128 v[184:187], v231 offset:3024
	ds_load_b128 v[176:179], v231 offset:6384
	;; [unrolled: 1-line block ×3, first 2 shown]
.LBB0_19:
	s_or_b32 exec_lo, exec_lo, s1
	s_waitcnt lgkmcnt(4)
	v_add_f64 v[0:1], v[196:197], v[220:221]
	v_add_f64 v[226:227], v[220:221], v[216:217]
	v_add_f64 v[220:221], v[220:221], -v[216:217]
	s_waitcnt lgkmcnt(2)
	v_add_f64 v[233:234], v[212:213], v[208:209]
	s_waitcnt lgkmcnt(0)
	v_add_f64 v[237:238], v[204:205], v[200:201]
	v_add_f64 v[246:247], v[204:205], -v[200:201]
	v_add_f64 v[2:3], v[198:199], v[222:223]
	v_add_f64 v[229:230], v[222:223], v[218:219]
	v_add_f64 v[222:223], v[222:223], -v[218:219]
	v_add_f64 v[250:251], v[176:177], -v[180:181]
	s_mov_b32 s2, 0xe8584caa
	s_mov_b32 s3, 0xbfebb67a
	;; [unrolled: 1-line block ×4, first 2 shown]
	s_barrier
	buffer_gl0_inv
	v_add_f64 v[235:236], v[214:215], v[210:211]
	v_add_f64 v[239:240], v[206:207], v[202:203]
	v_add_f64 v[241:242], v[206:207], -v[202:203]
	v_add_f64 v[248:249], v[178:179], -v[182:183]
	v_add_f64 v[216:217], v[0:1], v[216:217]
	v_add_f64 v[0:1], v[188:189], v[212:213]
	v_add_f64 v[212:213], v[212:213], -v[208:209]
	v_add_f64 v[218:219], v[2:3], v[218:219]
	v_add_f64 v[2:3], v[190:191], v[214:215]
	;; [unrolled: 3-line block ×3, first 2 shown]
	v_add_f64 v[204:205], v[176:177], v[180:181]
	v_fma_f64 v[192:193], v[237:238], -0.5, v[192:193]
	v_add_f64 v[210:211], v[2:3], v[210:211]
	v_add_f64 v[2:3], v[194:195], v[206:207]
	;; [unrolled: 1-line block ×3, first 2 shown]
	v_fma_f64 v[194:195], v[239:240], -0.5, v[194:195]
	v_add_f64 v[200:201], v[0:1], v[200:201]
	v_add_f64 v[0:1], v[184:185], v[176:177]
	;; [unrolled: 1-line block ×4, first 2 shown]
	s_delay_alu instid0(VALU_DEP_3)
	v_add_f64 v[176:177], v[0:1], v[180:181]
	v_fma_f64 v[0:1], v[226:227], -0.5, v[196:197]
	v_fma_f64 v[226:227], v[204:205], -0.5, v[184:185]
	;; [unrolled: 1-line block ×3, first 2 shown]
	v_add_f64 v[178:179], v[2:3], v[182:183]
	v_fma_f64 v[2:3], v[229:230], -0.5, v[198:199]
	v_fma_f64 v[229:230], v[206:207], -0.5, v[186:187]
	;; [unrolled: 1-line block ×3, first 2 shown]
	v_fma_f64 v[180:181], v[222:223], s[2:3], v[0:1]
	v_fma_f64 v[184:185], v[222:223], s[10:11], v[0:1]
	scratch_load_b32 v0, off, off offset:52 ; 4-byte Folded Reload
	v_fma_f64 v[188:189], v[214:215], s[2:3], v[196:197]
	v_fma_f64 v[204:205], v[214:215], s[10:11], v[196:197]
	;; [unrolled: 1-line block ×14, first 2 shown]
	s_waitcnt vmcnt(0)
	ds_store_b128 v0, v[216:219]
	ds_store_b128 v0, v[180:183] offset:16
	ds_store_b128 v0, v[184:187] offset:32
	scratch_load_b32 v0, off, off offset:56 ; 4-byte Folded Reload
	s_waitcnt vmcnt(0)
	ds_store_b128 v0, v[208:211]
	ds_store_b128 v0, v[188:191] offset:16
	ds_store_b128 v0, v[204:207] offset:32
	scratch_load_b32 v0, off, off offset:48 ; 4-byte Folded Reload
	s_waitcnt vmcnt(0)
	ds_store_b128 v0, v[200:203]
	ds_store_b128 v0, v[212:215] offset:16
	ds_store_b128 v0, v[220:223] offset:32
	s_and_saveexec_b32 s1, vcc_lo
	s_cbranch_execz .LBB0_21
; %bb.20:
	scratch_load_b32 v0, off, off offset:68 ; 4-byte Folded Reload
	s_waitcnt vmcnt(0)
	v_lshlrev_b32_e32 v0, 4, v0
	ds_store_b128 v0, v[176:179]
	ds_store_b128 v0, v[192:195] offset:16
	ds_store_b128 v0, v[196:199] offset:32
.LBB0_21:
	s_or_b32 exec_lo, exec_lo, s1
	s_waitcnt lgkmcnt(0)
	s_barrier
	buffer_gl0_inv
	ds_load_b128 v[188:191], v231
	ds_load_b128 v[184:187], v231 offset:1008
	ds_load_b128 v[212:215], v231 offset:6720
	;; [unrolled: 1-line block ×8, first 2 shown]
	s_and_saveexec_b32 s1, vcc_lo
	s_cbranch_execz .LBB0_23
; %bb.22:
	ds_load_b128 v[176:179], v231 offset:3024
	ds_load_b128 v[192:195], v231 offset:6384
	ds_load_b128 v[196:199], v231 offset:9744
.LBB0_23:
	s_or_b32 exec_lo, exec_lo, s1
	s_waitcnt lgkmcnt(4)
	v_mul_f64 v[0:1], v[66:67], v[222:223]
	v_mul_f64 v[2:3], v[66:67], v[220:221]
	s_mov_b32 s10, s2
	s_waitcnt lgkmcnt(0)
	s_barrier
	buffer_gl0_inv
	v_fma_f64 v[0:1], v[64:65], v[220:221], v[0:1]
	v_fma_f64 v[2:3], v[64:65], v[222:223], -v[2:3]
	v_mul_f64 v[64:65], v[62:63], v[214:215]
	v_mul_f64 v[62:63], v[62:63], v[212:213]
	s_delay_alu instid0(VALU_DEP_2) | instskip(NEXT) | instid1(VALU_DEP_2)
	v_fma_f64 v[64:65], v[60:61], v[212:213], v[64:65]
	v_fma_f64 v[60:61], v[60:61], v[214:215], -v[62:63]
	v_mul_f64 v[62:63], v[58:59], v[218:219]
	v_mul_f64 v[58:59], v[58:59], v[216:217]
	s_delay_alu instid0(VALU_DEP_2) | instskip(NEXT) | instid1(VALU_DEP_2)
	;; [unrolled: 5-line block ×5, first 2 shown]
	v_fma_f64 v[206:207], v[40:41], v[200:201], v[48:49]
	v_fma_f64 v[200:201], v[40:41], v[202:203], -v[42:43]
	v_mul_f64 v[40:41], v[46:47], v[194:195]
	s_delay_alu instid0(VALU_DEP_1) | instskip(SKIP_1) | instid1(VALU_DEP_1)
	v_fma_f64 v[48:49], v[44:45], v[192:193], v[40:41]
	v_mul_f64 v[40:41], v[46:47], v[192:193]
	v_fma_f64 v[50:51], v[44:45], v[194:195], -v[40:41]
	v_mul_f64 v[40:41], v[38:39], v[198:199]
	v_mul_f64 v[38:39], v[38:39], v[196:197]
	s_delay_alu instid0(VALU_DEP_2) | instskip(NEXT) | instid1(VALU_DEP_2)
	v_fma_f64 v[44:45], v[36:37], v[196:197], v[40:41]
	v_fma_f64 v[46:47], v[36:37], v[198:199], -v[38:39]
	v_add_f64 v[36:37], v[0:1], v[64:65]
	v_add_f64 v[40:41], v[188:189], v[0:1]
	v_add_f64 v[0:1], v[0:1], -v[64:65]
	s_delay_alu instid0(VALU_DEP_3) | instskip(SKIP_2) | instid1(VALU_DEP_2)
	v_fma_f64 v[42:43], v[36:37], -0.5, v[188:189]
	v_add_f64 v[36:37], v[2:3], v[60:61]
	v_add_f64 v[188:189], v[48:49], v[44:45]
	v_fma_f64 v[54:55], v[36:37], -0.5, v[190:191]
	v_add_f64 v[36:37], v[190:191], v[2:3]
	v_add_f64 v[2:3], v[2:3], -v[60:61]
	s_delay_alu instid0(VALU_DEP_2) | instskip(SKIP_1) | instid1(VALU_DEP_3)
	v_add_f64 v[38:39], v[36:37], v[60:61]
	v_add_f64 v[36:37], v[40:41], v[64:65]
	v_fma_f64 v[40:41], v[2:3], s[2:3], v[42:43]
	v_fma_f64 v[52:53], v[2:3], s[10:11], v[42:43]
	;; [unrolled: 1-line block ×4, first 2 shown]
	v_add_f64 v[0:1], v[62:63], v[58:59]
	v_add_f64 v[2:3], v[56:57], v[66:67]
	;; [unrolled: 1-line block ×4, first 2 shown]
	ds_store_b128 v255, v[36:39]
	ds_store_b128 v255, v[40:43] offset:48
	ds_store_b128 v255, v[52:55] offset:96
	v_add_f64 v[36:37], v[186:187], v[56:57]
	v_add_f64 v[38:39], v[184:185], v[62:63]
	;; [unrolled: 1-line block ×3, first 2 shown]
	v_fma_f64 v[0:1], v[0:1], -0.5, v[184:185]
	v_fma_f64 v[2:3], v[2:3], -0.5, v[186:187]
	v_add_f64 v[42:43], v[204:205], v[200:201]
	v_add_f64 v[186:187], v[208:209], -v[206:207]
	v_add_f64 v[54:55], v[36:37], v[66:67]
	v_add_f64 v[52:53], v[38:39], v[58:59]
	v_fma_f64 v[40:41], v[40:41], -0.5, v[180:181]
	v_add_f64 v[180:181], v[56:57], -v[66:67]
	v_add_f64 v[36:37], v[62:63], -v[58:59]
	;; [unrolled: 1-line block ×3, first 2 shown]
	v_add_f64 v[56:57], v[60:61], v[206:207]
	v_add_f64 v[58:59], v[64:65], v[200:201]
	v_fma_f64 v[42:43], v[42:43], -0.5, v[182:183]
	v_fma_f64 v[60:61], v[180:181], s[2:3], v[0:1]
	v_fma_f64 v[62:63], v[36:37], s[10:11], v[2:3]
	;; [unrolled: 1-line block ×6, first 2 shown]
	v_add_f64 v[0:1], v[50:51], v[46:47]
	v_add_f64 v[2:3], v[50:51], -v[46:47]
	v_fma_f64 v[38:39], v[188:189], -0.5, v[176:177]
	v_fma_f64 v[182:183], v[186:187], s[10:11], v[42:43]
	v_fma_f64 v[186:187], v[186:187], s[2:3], v[42:43]
	ds_store_b128 v228, v[52:55]
	ds_store_b128 v228, v[60:63] offset:48
	ds_store_b128 v228, v[64:67] offset:96
	v_fma_f64 v[0:1], v[0:1], -0.5, v[178:179]
	v_fma_f64 v[36:37], v[2:3], s[2:3], v[38:39]
	v_fma_f64 v[40:41], v[2:3], s[10:11], v[38:39]
	v_add_f64 v[2:3], v[48:49], -v[44:45]
	s_delay_alu instid0(VALU_DEP_1)
	v_fma_f64 v[38:39], v[2:3], s[10:11], v[0:1]
	v_fma_f64 v[42:43], v[2:3], s[2:3], v[0:1]
	scratch_load_b32 v0, off, off offset:64 ; 4-byte Folded Reload
	s_waitcnt vmcnt(0)
	ds_store_b128 v0, v[56:59]
	ds_store_b128 v0, v[180:183] offset:48
	ds_store_b128 v0, v[184:187] offset:96
	s_and_saveexec_b32 s1, vcc_lo
	s_cbranch_execz .LBB0_25
; %bb.24:
	v_add_f64 v[0:1], v[178:179], v[50:51]
	v_add_f64 v[2:3], v[176:177], v[48:49]
	s_delay_alu instid0(VALU_DEP_2)
	v_add_f64 v[46:47], v[0:1], v[46:47]
	s_clause 0x1
	scratch_load_b32 v0, off, off offset:60
	scratch_load_b32 v1, off, off offset:40
	v_add_f64 v[44:45], v[2:3], v[44:45]
	s_waitcnt vmcnt(1)
	v_mul_u32_u24_e32 v0, 9, v0
	s_waitcnt vmcnt(0)
	s_delay_alu instid0(VALU_DEP_1)
	v_add_lshl_u32 v0, v0, v1, 4
	ds_store_b128 v0, v[44:47]
	ds_store_b128 v0, v[36:39] offset:48
	ds_store_b128 v0, v[40:43] offset:96
.LBB0_25:
	s_or_b32 exec_lo, exec_lo, s1
	s_waitcnt lgkmcnt(0)
	s_barrier
	buffer_gl0_inv
	ds_load_b128 v[44:47], v231 offset:2016
	ds_load_b128 v[48:51], v231 offset:4032
	;; [unrolled: 1-line block ×8, first 2 shown]
	s_mov_b32 s2, 0x134454ff
	s_mov_b32 s3, 0xbfee6f0e
	s_mov_b32 s11, 0x3fee6f0e
	s_mov_b32 s10, s2
	s_waitcnt lgkmcnt(7)
	v_mul_f64 v[0:1], v[82:83], v[46:47]
	s_waitcnt lgkmcnt(6)
	v_mul_f64 v[2:3], v[74:75], v[50:51]
	;; [unrolled: 2-line block ×3, first 2 shown]
	v_mul_f64 v[74:75], v[74:75], v[48:49]
	v_mul_f64 v[70:71], v[70:71], v[52:53]
	;; [unrolled: 1-line block ×3, first 2 shown]
	s_waitcnt lgkmcnt(4)
	v_mul_f64 v[186:187], v[78:79], v[58:59]
	v_mul_f64 v[78:79], v[78:79], v[56:57]
	s_waitcnt lgkmcnt(2)
	v_mul_f64 v[190:191], v[98:99], v[66:67]
	s_waitcnt lgkmcnt(1)
	v_mul_f64 v[192:193], v[94:95], v[178:179]
	v_mul_f64 v[98:99], v[98:99], v[64:65]
	;; [unrolled: 1-line block ×4, first 2 shown]
	s_waitcnt lgkmcnt(0)
	v_mul_f64 v[194:195], v[90:91], v[182:183]
	v_mul_f64 v[86:87], v[86:87], v[60:61]
	;; [unrolled: 1-line block ×3, first 2 shown]
	v_fma_f64 v[0:1], v[80:81], v[44:45], v[0:1]
	v_fma_f64 v[2:3], v[72:73], v[48:49], v[2:3]
	;; [unrolled: 1-line block ×3, first 2 shown]
	v_fma_f64 v[72:73], v[72:73], v[50:51], -v[74:75]
	v_fma_f64 v[54:55], v[68:69], v[54:55], -v[70:71]
	;; [unrolled: 1-line block ×3, first 2 shown]
	v_fma_f64 v[56:57], v[76:77], v[56:57], v[186:187]
	v_fma_f64 v[58:59], v[76:77], v[58:59], -v[78:79]
	v_fma_f64 v[64:65], v[96:97], v[64:65], v[190:191]
	v_fma_f64 v[68:69], v[92:93], v[176:177], v[192:193]
	v_fma_f64 v[66:67], v[96:97], v[66:67], -v[98:99]
	v_fma_f64 v[74:75], v[92:93], v[178:179], -v[94:95]
	v_fma_f64 v[60:61], v[84:85], v[60:61], v[188:189]
	v_fma_f64 v[70:71], v[88:89], v[180:181], v[194:195]
	v_fma_f64 v[62:63], v[84:85], v[62:63], -v[86:87]
	v_fma_f64 v[76:77], v[88:89], v[182:183], -v[90:91]
	ds_load_b128 v[44:47], v231
	ds_load_b128 v[48:51], v231 offset:1008
	s_waitcnt lgkmcnt(0)
	s_barrier
	buffer_gl0_inv
	v_add_f64 v[96:97], v[44:45], v[0:1]
	v_add_f64 v[78:79], v[2:3], v[52:53]
	v_add_f64 v[84:85], v[72:73], v[54:55]
	v_add_f64 v[178:179], v[46:47], v[80:81]
	v_add_f64 v[82:83], v[0:1], v[56:57]
	v_add_f64 v[86:87], v[80:81], v[58:59]
	v_add_f64 v[98:99], v[80:81], -v[58:59]
	v_add_f64 v[88:89], v[64:65], v[68:69]
	v_add_f64 v[184:185], v[0:1], -v[56:57]
	v_add_f64 v[92:93], v[66:67], v[74:75]
	v_add_f64 v[180:181], v[48:49], v[60:61]
	;; [unrolled: 1-line block ×5, first 2 shown]
	v_add_f64 v[176:177], v[72:73], -v[54:55]
	v_add_f64 v[186:187], v[62:63], -v[76:77]
	;; [unrolled: 1-line block ×17, first 2 shown]
	v_fma_f64 v[78:79], v[78:79], -0.5, v[44:45]
	v_fma_f64 v[84:85], v[84:85], -0.5, v[46:47]
	v_add_f64 v[72:73], v[178:179], v[72:73]
	v_fma_f64 v[44:45], v[82:83], -0.5, v[44:45]
	v_add_f64 v[82:83], v[2:3], -v[52:53]
	v_fma_f64 v[46:47], v[86:87], -0.5, v[46:47]
	v_fma_f64 v[88:89], v[88:89], -0.5, v[48:49]
	v_add_f64 v[86:87], v[66:67], -v[74:75]
	v_fma_f64 v[92:93], v[92:93], -0.5, v[50:51]
	;; [unrolled: 3-line block ×3, first 2 shown]
	v_add_f64 v[94:95], v[0:1], -v[2:3]
	v_add_f64 v[0:1], v[2:3], -v[0:1]
	v_add_f64 v[2:3], v[96:97], v[2:3]
	v_add_f64 v[64:65], v[180:181], v[64:65]
	v_add_f64 v[66:67], v[182:183], v[66:67]
	v_add_f64 v[80:81], v[80:81], v[198:199]
	v_add_f64 v[198:199], v[62:63], v[210:211]
	v_fma_f64 v[96:97], v[98:99], s[2:3], v[78:79]
	v_fma_f64 v[78:79], v[98:99], s[10:11], v[78:79]
	;; [unrolled: 1-line block ×16, first 2 shown]
	s_mov_b32 s2, 0x4755a5e
	s_mov_b32 s3, 0xbfe2cf23
	;; [unrolled: 1-line block ×4, first 2 shown]
	v_add_f64 v[2:3], v[2:3], v[52:53]
	v_add_f64 v[52:53], v[72:73], v[54:55]
	;; [unrolled: 1-line block ×10, first 2 shown]
	v_fma_f64 v[64:65], v[176:177], s[2:3], v[96:97]
	v_fma_f64 v[66:67], v[176:177], s[10:11], v[78:79]
	;; [unrolled: 1-line block ×16, first 2 shown]
	s_mov_b32 s2, 0x372fe950
	s_mov_b32 s3, 0x3fd3c6ef
	v_add_f64 v[56:57], v[2:3], v[56:57]
	v_add_f64 v[58:59], v[52:53], v[58:59]
	;; [unrolled: 1-line block ×4, first 2 shown]
	v_fma_f64 v[64:65], v[94:95], s[2:3], v[64:65]
	v_fma_f64 v[68:69], v[94:95], s[2:3], v[66:67]
	;; [unrolled: 1-line block ×16, first 2 shown]
	ds_store_b128 v244, v[56:59]
	ds_store_b128 v244, v[64:67] offset:144
	ds_store_b128 v244, v[72:75] offset:288
	;; [unrolled: 1-line block ×4, first 2 shown]
	ds_store_b128 v243, v[60:63]
	ds_store_b128 v243, v[80:83] offset:144
	ds_store_b128 v243, v[44:47] offset:288
	;; [unrolled: 1-line block ×4, first 2 shown]
	s_waitcnt lgkmcnt(0)
	s_barrier
	buffer_gl0_inv
	ds_load_b128 v[56:59], v231
	ds_load_b128 v[76:79], v231 offset:1440
	ds_load_b128 v[72:75], v231 offset:2880
	;; [unrolled: 1-line block ×6, first 2 shown]
	s_and_saveexec_b32 s1, s0
	s_cbranch_execz .LBB0_27
; %bb.26:
	ds_load_b128 v[44:47], v231 offset:1008
	ds_load_b128 v[48:51], v231 offset:2448
	;; [unrolled: 1-line block ×7, first 2 shown]
.LBB0_27:
	s_or_b32 exec_lo, exec_lo, s1
	s_waitcnt lgkmcnt(5)
	v_mul_f64 v[0:1], v[126:127], v[78:79]
	v_mul_f64 v[2:3], v[126:127], v[76:77]
	s_waitcnt lgkmcnt(4)
	v_mul_f64 v[84:85], v[130:131], v[74:75]
	v_mul_f64 v[86:87], v[130:131], v[72:73]
	s_waitcnt lgkmcnt(0)
	v_mul_f64 v[88:89], v[134:135], v[82:83]
	v_mul_f64 v[90:91], v[134:135], v[80:81]
	v_mul_f64 v[92:93], v[138:139], v[70:71]
	v_mul_f64 v[94:95], v[138:139], v[68:69]
	;; [unrolled: 1-line block ×6, first 2 shown]
	s_mov_b32 s10, 0x37e14327
	s_mov_b32 s14, 0xe976ee23
	;; [unrolled: 1-line block ×20, first 2 shown]
	s_barrier
	buffer_gl0_inv
	v_fma_f64 v[0:1], v[124:125], v[76:77], v[0:1]
	v_fma_f64 v[2:3], v[124:125], v[78:79], -v[2:3]
	v_fma_f64 v[72:73], v[128:129], v[72:73], v[84:85]
	v_fma_f64 v[74:75], v[128:129], v[74:75], -v[86:87]
	;; [unrolled: 2-line block ×6, first 2 shown]
	v_add_f64 v[80:81], v[0:1], v[76:77]
	v_add_f64 v[82:83], v[2:3], v[78:79]
	v_add_f64 v[84:85], v[72:73], v[68:69]
	v_add_f64 v[86:87], v[74:75], v[70:71]
	v_add_f64 v[68:69], v[72:73], -v[68:69]
	v_add_f64 v[70:71], v[74:75], -v[70:71]
	v_add_f64 v[72:73], v[64:65], v[60:61]
	v_add_f64 v[74:75], v[66:67], v[62:63]
	v_add_f64 v[60:61], v[60:61], -v[64:65]
	v_add_f64 v[62:63], v[62:63], -v[66:67]
	;; [unrolled: 1-line block ×4, first 2 shown]
	v_add_f64 v[64:65], v[84:85], v[80:81]
	v_add_f64 v[66:67], v[86:87], v[82:83]
	v_add_f64 v[76:77], v[80:81], -v[72:73]
	v_add_f64 v[78:79], v[82:83], -v[74:75]
	;; [unrolled: 1-line block ×6, first 2 shown]
	v_add_f64 v[68:69], v[60:61], v[68:69]
	v_add_f64 v[70:71], v[62:63], v[70:71]
	v_add_f64 v[60:61], v[0:1], -v[60:61]
	v_add_f64 v[62:63], v[2:3], -v[62:63]
	;; [unrolled: 1-line block ×4, first 2 shown]
	v_add_f64 v[64:65], v[72:73], v[64:65]
	v_add_f64 v[66:67], v[74:75], v[66:67]
	v_add_f64 v[72:73], v[72:73], -v[84:85]
	v_add_f64 v[74:75], v[74:75], -v[86:87]
	v_mul_f64 v[76:77], v[76:77], s[10:11]
	v_mul_f64 v[78:79], v[78:79], s[10:11]
	;; [unrolled: 1-line block ×6, first 2 shown]
	v_add_f64 v[0:1], v[68:69], v[0:1]
	v_add_f64 v[2:3], v[70:71], v[2:3]
	;; [unrolled: 1-line block ×4, first 2 shown]
	v_mul_f64 v[84:85], v[72:73], s[18:19]
	v_mul_f64 v[86:87], v[74:75], s[18:19]
	v_fma_f64 v[68:69], v[72:73], s[18:19], v[76:77]
	v_fma_f64 v[70:71], v[74:75], s[18:19], v[78:79]
	;; [unrolled: 1-line block ×4, first 2 shown]
	v_fma_f64 v[88:89], v[92:93], s[2:3], -v[88:89]
	v_fma_f64 v[90:91], v[94:95], s[2:3], -v[90:91]
	;; [unrolled: 1-line block ×6, first 2 shown]
	v_fma_f64 v[64:65], v[64:65], s[12:13], v[56:57]
	v_fma_f64 v[66:67], v[66:67], s[12:13], v[58:59]
	v_fma_f64 v[80:81], v[80:81], s[16:17], -v[84:85]
	v_fma_f64 v[82:83], v[82:83], s[16:17], -v[86:87]
	v_fma_f64 v[84:85], v[0:1], s[26:27], v[72:73]
	v_fma_f64 v[86:87], v[2:3], s[26:27], v[74:75]
	;; [unrolled: 1-line block ×6, first 2 shown]
	v_add_f64 v[88:89], v[68:69], v[64:65]
	v_add_f64 v[90:91], v[70:71], v[66:67]
	;; [unrolled: 1-line block ×7, first 2 shown]
	v_add_f64 v[62:63], v[90:91], -v[84:85]
	v_add_f64 v[64:65], v[2:3], v[76:77]
	v_add_f64 v[66:67], v[78:79], -v[0:1]
	v_add_f64 v[68:69], v[80:81], -v[72:73]
	v_add_f64 v[70:71], v[74:75], v[82:83]
	v_add_f64 v[72:73], v[72:73], v[80:81]
	v_add_f64 v[74:75], v[82:83], -v[74:75]
	v_add_f64 v[76:77], v[76:77], -v[2:3]
	v_add_f64 v[78:79], v[0:1], v[78:79]
	v_add_f64 v[80:81], v[88:89], -v[86:87]
	v_add_f64 v[82:83], v[84:85], v[90:91]
	ds_store_b128 v245, v[56:59]
	ds_store_b128 v245, v[60:63] offset:720
	ds_store_b128 v245, v[64:67] offset:1440
	;; [unrolled: 1-line block ×6, first 2 shown]
	s_and_saveexec_b32 s1, s0
	s_cbranch_execz .LBB0_29
; %bb.28:
	v_mul_f64 v[0:1], v[110:111], v[172:173]
	v_mul_f64 v[2:3], v[102:103], v[48:49]
	;; [unrolled: 1-line block ×12, first 2 shown]
	v_fma_f64 v[0:1], v[108:109], v[174:175], -v[0:1]
	v_fma_f64 v[2:3], v[100:101], v[50:51], -v[2:3]
	;; [unrolled: 1-line block ×4, first 2 shown]
	v_fma_f64 v[48:49], v[100:101], v[48:49], v[60:61]
	v_fma_f64 v[56:57], v[108:109], v[172:173], v[62:63]
	;; [unrolled: 1-line block ×6, first 2 shown]
	v_fma_f64 v[38:39], v[116:117], v[38:39], -v[72:73]
	v_fma_f64 v[42:43], v[120:121], v[42:43], -v[74:75]
	v_add_f64 v[60:61], v[2:3], v[0:1]
	v_add_f64 v[0:1], v[2:3], -v[0:1]
	v_add_f64 v[62:63], v[54:55], v[50:51]
	v_add_f64 v[64:65], v[48:49], v[56:57]
	;; [unrolled: 1-line block ×3, first 2 shown]
	v_add_f64 v[52:53], v[52:53], -v[58:59]
	v_add_f64 v[68:69], v[40:41], -v[36:37]
	v_add_f64 v[36:37], v[36:37], v[40:41]
	v_add_f64 v[58:59], v[38:39], v[42:43]
	v_add_f64 v[40:41], v[48:49], -v[56:57]
	v_add_f64 v[38:39], v[42:43], -v[38:39]
	;; [unrolled: 1-line block ×3, first 2 shown]
	v_add_f64 v[48:49], v[62:63], v[60:61]
	v_add_f64 v[2:3], v[66:67], v[64:65]
	v_add_f64 v[50:51], v[68:69], -v[52:53]
	v_add_f64 v[56:57], v[64:65], -v[36:37]
	;; [unrolled: 1-line block ×8, first 2 shown]
	v_add_f64 v[52:53], v[68:69], v[52:53]
	v_add_f64 v[42:43], v[38:39], v[42:43]
	v_add_f64 v[80:81], v[0:1], -v[38:39]
	v_add_f64 v[48:49], v[58:59], v[48:49]
	v_add_f64 v[58:59], v[58:59], -v[62:63]
	v_add_f64 v[2:3], v[36:37], v[2:3]
	v_mul_f64 v[50:51], v[50:51], s[14:15]
	v_mul_f64 v[56:57], v[56:57], s[10:11]
	v_mul_f64 v[54:55], v[54:55], s[10:11]
	v_mul_f64 v[68:69], v[70:71], s[2:3]
	v_add_f64 v[40:41], v[52:53], v[40:41]
	v_add_f64 v[0:1], v[42:43], v[0:1]
	;; [unrolled: 1-line block ×3, first 2 shown]
	v_add_f64 v[46:47], v[62:63], -v[60:61]
	v_mul_f64 v[60:61], v[58:59], s[18:19]
	v_mul_f64 v[62:63], v[72:73], s[14:15]
	;; [unrolled: 1-line block ×3, first 2 shown]
	v_add_f64 v[36:37], v[44:45], v[2:3]
	v_add_f64 v[44:45], v[66:67], -v[64:65]
	v_mul_f64 v[64:65], v[76:77], s[18:19]
	v_fma_f64 v[42:43], v[78:79], s[22:23], v[50:51]
	v_fma_f64 v[52:53], v[58:59], s[18:19], v[54:55]
	;; [unrolled: 1-line block ×3, first 2 shown]
	v_fma_f64 v[66:67], v[78:79], s[24:25], -v[68:69]
	v_fma_f64 v[50:51], v[70:71], s[2:3], -v[50:51]
	v_fma_f64 v[48:49], v[48:49], s[12:13], v[38:39]
	v_fma_f64 v[54:55], v[46:47], s[20:21], -v[54:55]
	v_fma_f64 v[46:47], v[46:47], s[16:17], -v[60:61]
	v_fma_f64 v[60:61], v[80:81], s[22:23], v[62:63]
	;; [unrolled: 3-line block ×4, first 2 shown]
	v_fma_f64 v[66:67], v[40:41], s[26:27], v[66:67]
	v_fma_f64 v[40:41], v[40:41], s[26:27], v[50:51]
	v_add_f64 v[52:53], v[52:53], v[48:49]
	v_add_f64 v[70:71], v[54:55], v[48:49]
	;; [unrolled: 1-line block ×3, first 2 shown]
	v_fma_f64 v[72:73], v[0:1], s[26:27], v[60:61]
	v_fma_f64 v[68:69], v[0:1], s[26:27], v[68:69]
	;; [unrolled: 1-line block ×3, first 2 shown]
	v_add_f64 v[74:75], v[58:59], v[2:3]
	v_add_f64 v[76:77], v[56:57], v[2:3]
	;; [unrolled: 1-line block ×4, first 2 shown]
	v_add_f64 v[62:63], v[52:53], -v[64:65]
	v_add_f64 v[50:51], v[48:49], -v[40:41]
	v_add_f64 v[54:55], v[40:41], v[48:49]
	v_add_f64 v[58:59], v[70:71], -v[66:67]
	v_add_f64 v[46:47], v[66:67], v[70:71]
	v_add_f64 v[60:61], v[72:73], v[74:75]
	;; [unrolled: 1-line block ×3, first 2 shown]
	v_add_f64 v[52:53], v[2:3], -v[0:1]
	v_add_f64 v[48:49], v[0:1], v[2:3]
	scratch_load_b32 v0, off, off offset:44 ; 4-byte Folded Reload
	v_add_f64 v[44:45], v[76:77], -v[68:69]
	v_add_f64 v[40:41], v[74:75], -v[72:73]
	s_waitcnt vmcnt(0)
	v_lshlrev_b32_e32 v0, 4, v0
	ds_store_b128 v0, v[36:39] offset:5040
	ds_store_b128 v0, v[60:63] offset:5760
	;; [unrolled: 1-line block ×7, first 2 shown]
.LBB0_29:
	s_or_b32 exec_lo, exec_lo, s1
	s_waitcnt lgkmcnt(0)
	s_barrier
	buffer_gl0_inv
	ds_load_b128 v[36:39], v231 offset:5040
	ds_load_b128 v[40:43], v231 offset:6048
	;; [unrolled: 1-line block ×6, first 2 shown]
	s_mul_i32 s0, s5, 0xd2
	s_mul_hi_u32 s1, s4, 0xd2
	s_mul_i32 s11, s5, 0xfffffe9b
	s_mul_i32 s10, s4, 0xfffffe9b
	s_mov_b32 s2, 0x1a01a01a
	s_mov_b32 s3, 0x3f5a01a0
	s_waitcnt lgkmcnt(5)
	v_mul_f64 v[0:1], v[150:151], v[38:39]
	v_mul_f64 v[2:3], v[150:151], v[36:37]
	s_waitcnt lgkmcnt(4)
	v_mul_f64 v[60:61], v[154:155], v[42:43]
	v_mul_f64 v[62:63], v[154:155], v[40:41]
	;; [unrolled: 3-line block ×5, first 2 shown]
	v_fma_f64 v[0:1], v[148:149], v[36:37], v[0:1]
	v_fma_f64 v[2:3], v[148:149], v[38:39], -v[2:3]
	v_fma_f64 v[60:61], v[152:153], v[40:41], v[60:61]
	v_fma_f64 v[62:63], v[152:153], v[42:43], -v[62:63]
	;; [unrolled: 2-line block ×5, first 2 shown]
	ds_load_b128 v[36:39], v231
	ds_load_b128 v[40:43], v231 offset:1008
	ds_load_b128 v[44:47], v231 offset:2016
	;; [unrolled: 1-line block ×3, first 2 shown]
	s_waitcnt lgkmcnt(3)
	v_add_f64 v[52:53], v[36:37], -v[0:1]
	v_add_f64 v[54:55], v[38:39], -v[2:3]
	s_waitcnt lgkmcnt(2)
	v_add_f64 v[60:61], v[40:41], -v[60:61]
	v_add_f64 v[62:63], v[42:43], -v[62:63]
	;; [unrolled: 3-line block ×4, first 2 shown]
	v_add_f64 v[72:73], v[56:57], -v[72:73]
	v_add_f64 v[74:75], v[58:59], -v[74:75]
	v_mad_u64_u32 v[2:3], null, s4, v232, 0
	v_fma_f64 v[36:37], v[36:37], 2.0, -v[52:53]
	v_fma_f64 v[38:39], v[38:39], 2.0, -v[54:55]
	;; [unrolled: 1-line block ×10, first 2 shown]
	ds_store_b128 v231, v[60:63] offset:6048
	ds_store_b128 v231, v[64:67] offset:7056
	ds_store_b128 v231, v[68:71] offset:8064
	ds_store_b128 v231, v[72:75] offset:9072
	ds_store_b128 v231, v[36:39]
	ds_store_b128 v231, v[40:43] offset:1008
	ds_store_b128 v231, v[44:47] offset:2016
	;; [unrolled: 1-line block ×5, first 2 shown]
	s_waitcnt lgkmcnt(0)
	s_barrier
	buffer_gl0_inv
	ds_load_b128 v[36:39], v231
	ds_load_b128 v[40:43], v231 offset:3360
	ds_load_b128 v[44:47], v231 offset:6720
	;; [unrolled: 1-line block ×8, first 2 shown]
	s_clause 0x1
	scratch_load_b64 v[0:1], off, off offset:8
	scratch_load_b128 v[95:98], off, off offset:16
	s_waitcnt lgkmcnt(7)
	v_mul_f64 v[76:77], v[10:11], v[42:43]
	v_mul_f64 v[10:11], v[10:11], v[40:41]
	s_waitcnt lgkmcnt(6)
	v_mul_f64 v[78:79], v[26:27], v[46:47]
	v_mul_f64 v[26:27], v[26:27], v[44:45]
	;; [unrolled: 3-line block ×8, first 2 shown]
	v_fma_f64 v[40:41], v[8:9], v[40:41], v[76:77]
	v_fma_f64 v[8:9], v[8:9], v[42:43], -v[10:11]
	v_fma_f64 v[10:11], v[24:25], v[44:45], v[78:79]
	v_fma_f64 v[24:25], v[24:25], v[46:47], -v[26:27]
	;; [unrolled: 2-line block ×8, first 2 shown]
	v_mul_f64 v[6:7], v[40:41], s[2:3]
	v_mul_f64 v[8:9], v[8:9], s[2:3]
	;; [unrolled: 1-line block ×15, first 2 shown]
	s_waitcnt vmcnt(1)
	v_mov_b32_e32 v94, v0
	s_waitcnt vmcnt(0)
	v_mul_f64 v[72:73], v[97:98], v[38:39]
	v_mul_f64 v[74:75], v[97:98], v[36:37]
	s_delay_alu instid0(VALU_DEP_3) | instskip(SKIP_1) | instid1(VALU_DEP_1)
	v_mad_u64_u32 v[0:1], null, s6, v94, 0
	s_mul_i32 s6, s4, 0xd2
	v_mad_u64_u32 v[92:93], null, s7, v94, v[1:2]
	v_mad_u64_u32 v[93:94], null, s5, v232, v[3:4]
	s_add_i32 s7, s1, s0
	s_mul_hi_u32 s5, s4, 0xfffffe9b
	s_delay_alu instid0(SALU_CYCLE_1) | instskip(NEXT) | instid1(VALU_DEP_2)
	s_sub_i32 s1, s5, s4
	v_mov_b32_e32 v1, v92
	s_lshl_b64 s[4:5], s[6:7], 4
	s_delay_alu instid0(VALU_DEP_2) | instskip(SKIP_1) | instid1(VALU_DEP_2)
	v_mov_b32_e32 v3, v93
	s_add_i32 s11, s1, s11
	v_lshlrev_b64 v[0:1], 4, v[0:1]
	s_lshl_b64 s[6:7], s[10:11], 4
	s_delay_alu instid0(VALU_DEP_2) | instskip(NEXT) | instid1(VALU_DEP_2)
	v_lshlrev_b64 v[2:3], 4, v[2:3]
	v_add_co_u32 v0, s0, s8, v0
	s_delay_alu instid0(VALU_DEP_1) | instskip(NEXT) | instid1(VALU_DEP_2)
	v_add_co_ci_u32_e64 v1, s0, s9, v1, s0
	v_add_co_u32 v64, s0, v0, v2
	v_fma_f64 v[36:37], v[95:96], v[36:37], v[72:73]
	v_fma_f64 v[38:39], v[95:96], v[38:39], -v[74:75]
	s_delay_alu instid0(VALU_DEP_4) | instskip(NEXT) | instid1(VALU_DEP_4)
	v_add_co_ci_u32_e64 v65, s0, v1, v3, s0
	v_add_co_u32 v66, s0, v64, s4
	s_delay_alu instid0(VALU_DEP_1) | instskip(NEXT) | instid1(VALU_DEP_2)
	v_add_co_ci_u32_e64 v67, s0, s5, v65, s0
	v_add_co_u32 v68, s0, v66, s4
	s_delay_alu instid0(VALU_DEP_1) | instskip(SKIP_2) | instid1(VALU_DEP_4)
	v_add_co_ci_u32_e64 v69, s0, s5, v67, s0
	v_mul_f64 v[2:3], v[36:37], s[2:3]
	v_mul_f64 v[4:5], v[38:39], s[2:3]
	v_add_co_u32 v38, s0, v68, s6
	v_mul_f64 v[36:37], v[62:63], s[2:3]
	v_add_co_ci_u32_e64 v39, s0, s7, v69, s0
	s_delay_alu instid0(VALU_DEP_3) | instskip(NEXT) | instid1(VALU_DEP_1)
	v_add_co_u32 v40, s0, v38, s4
	v_add_co_ci_u32_e64 v41, s0, s5, v39, s0
	s_delay_alu instid0(VALU_DEP_2) | instskip(NEXT) | instid1(VALU_DEP_1)
	v_add_co_u32 v42, s0, v40, s4
	v_add_co_ci_u32_e64 v43, s0, s5, v41, s0
	s_delay_alu instid0(VALU_DEP_2) | instskip(NEXT) | instid1(VALU_DEP_1)
	;; [unrolled: 3-line block ×4, first 2 shown]
	v_add_co_u32 v0, s0, v46, s4
	v_add_co_ci_u32_e64 v1, s0, s5, v47, s0
	s_clause 0x4
	global_store_b128 v[64:65], v[2:5], off
	global_store_b128 v[66:67], v[6:9], off
	;; [unrolled: 1-line block ×9, first 2 shown]
	s_and_b32 exec_lo, exec_lo, vcc_lo
	s_cbranch_execz .LBB0_31
; %bb.30:
	global_load_b128 v[2:5], v[224:225], off offset:3024
	scratch_load_b64 v[6:7], off, off offset:32 ; 8-byte Folded Reload
	v_add_co_u32 v0, vcc_lo, v0, s6
	v_add_co_ci_u32_e32 v1, vcc_lo, s7, v1, vcc_lo
	s_waitcnt vmcnt(0)
	global_load_b128 v[6:9], v[6:7], off offset:2288
	scratch_load_b64 v[10:11], off, off     ; 8-byte Folded Reload
	s_waitcnt vmcnt(0)
	global_load_b128 v[10:13], v[10:11], off offset:1552
	ds_load_b128 v[14:17], v231 offset:3024
	ds_load_b128 v[18:21], v231 offset:6384
	;; [unrolled: 1-line block ×3, first 2 shown]
	s_waitcnt lgkmcnt(2)
	v_mul_f64 v[26:27], v[16:17], v[4:5]
	v_mul_f64 v[4:5], v[14:15], v[4:5]
	s_waitcnt lgkmcnt(1)
	v_mul_f64 v[28:29], v[20:21], v[8:9]
	v_mul_f64 v[8:9], v[18:19], v[8:9]
	s_delay_alu instid0(VALU_DEP_4) | instskip(NEXT) | instid1(VALU_DEP_4)
	v_fma_f64 v[14:15], v[14:15], v[2:3], v[26:27]
	v_fma_f64 v[4:5], v[2:3], v[16:17], -v[4:5]
	s_delay_alu instid0(VALU_DEP_4) | instskip(NEXT) | instid1(VALU_DEP_4)
	v_fma_f64 v[16:17], v[18:19], v[6:7], v[28:29]
	v_fma_f64 v[8:9], v[6:7], v[20:21], -v[8:9]
	s_delay_alu instid0(VALU_DEP_4) | instskip(NEXT) | instid1(VALU_DEP_4)
	v_mul_f64 v[2:3], v[14:15], s[2:3]
	v_mul_f64 v[4:5], v[4:5], s[2:3]
	s_delay_alu instid0(VALU_DEP_4) | instskip(NEXT) | instid1(VALU_DEP_4)
	v_mul_f64 v[6:7], v[16:17], s[2:3]
	v_mul_f64 v[8:9], v[8:9], s[2:3]
	v_add_co_u32 v14, vcc_lo, v0, s4
	v_add_co_ci_u32_e32 v15, vcc_lo, s5, v1, vcc_lo
	s_delay_alu instid0(VALU_DEP_2) | instskip(NEXT) | instid1(VALU_DEP_2)
	v_add_co_u32 v16, vcc_lo, v14, s4
	v_add_co_ci_u32_e32 v17, vcc_lo, s5, v15, vcc_lo
	s_waitcnt vmcnt(0) lgkmcnt(0)
	v_mul_f64 v[30:31], v[24:25], v[12:13]
	v_mul_f64 v[12:13], v[22:23], v[12:13]
	s_delay_alu instid0(VALU_DEP_2) | instskip(NEXT) | instid1(VALU_DEP_2)
	v_fma_f64 v[18:19], v[22:23], v[10:11], v[30:31]
	v_fma_f64 v[12:13], v[10:11], v[24:25], -v[12:13]
	s_delay_alu instid0(VALU_DEP_2) | instskip(NEXT) | instid1(VALU_DEP_2)
	v_mul_f64 v[10:11], v[18:19], s[2:3]
	v_mul_f64 v[12:13], v[12:13], s[2:3]
	global_store_b128 v[0:1], v[2:5], off
	global_store_b128 v[14:15], v[6:9], off
	;; [unrolled: 1-line block ×3, first 2 shown]
.LBB0_31:
	s_nop 0
	s_sendmsg sendmsg(MSG_DEALLOC_VGPRS)
	s_endpgm
	.section	.rodata,"a",@progbits
	.p2align	6, 0x0
	.amdhsa_kernel bluestein_single_back_len630_dim1_dp_op_CI_CI
		.amdhsa_group_segment_fixed_size 10080
		.amdhsa_private_segment_fixed_size 76
		.amdhsa_kernarg_size 104
		.amdhsa_user_sgpr_count 15
		.amdhsa_user_sgpr_dispatch_ptr 0
		.amdhsa_user_sgpr_queue_ptr 0
		.amdhsa_user_sgpr_kernarg_segment_ptr 1
		.amdhsa_user_sgpr_dispatch_id 0
		.amdhsa_user_sgpr_private_segment_size 0
		.amdhsa_wavefront_size32 1
		.amdhsa_uses_dynamic_stack 0
		.amdhsa_enable_private_segment 1
		.amdhsa_system_sgpr_workgroup_id_x 1
		.amdhsa_system_sgpr_workgroup_id_y 0
		.amdhsa_system_sgpr_workgroup_id_z 0
		.amdhsa_system_sgpr_workgroup_info 0
		.amdhsa_system_vgpr_workitem_id 0
		.amdhsa_next_free_vgpr 256
		.amdhsa_next_free_sgpr 30
		.amdhsa_reserve_vcc 1
		.amdhsa_float_round_mode_32 0
		.amdhsa_float_round_mode_16_64 0
		.amdhsa_float_denorm_mode_32 3
		.amdhsa_float_denorm_mode_16_64 3
		.amdhsa_dx10_clamp 1
		.amdhsa_ieee_mode 1
		.amdhsa_fp16_overflow 0
		.amdhsa_workgroup_processor_mode 1
		.amdhsa_memory_ordered 1
		.amdhsa_forward_progress 0
		.amdhsa_shared_vgpr_count 0
		.amdhsa_exception_fp_ieee_invalid_op 0
		.amdhsa_exception_fp_denorm_src 0
		.amdhsa_exception_fp_ieee_div_zero 0
		.amdhsa_exception_fp_ieee_overflow 0
		.amdhsa_exception_fp_ieee_underflow 0
		.amdhsa_exception_fp_ieee_inexact 0
		.amdhsa_exception_int_div_zero 0
	.end_amdhsa_kernel
	.text
.Lfunc_end0:
	.size	bluestein_single_back_len630_dim1_dp_op_CI_CI, .Lfunc_end0-bluestein_single_back_len630_dim1_dp_op_CI_CI
                                        ; -- End function
	.section	.AMDGPU.csdata,"",@progbits
; Kernel info:
; codeLenInByte = 16780
; NumSgprs: 32
; NumVgprs: 256
; ScratchSize: 76
; MemoryBound: 0
; FloatMode: 240
; IeeeMode: 1
; LDSByteSize: 10080 bytes/workgroup (compile time only)
; SGPRBlocks: 3
; VGPRBlocks: 31
; NumSGPRsForWavesPerEU: 32
; NumVGPRsForWavesPerEU: 256
; Occupancy: 5
; WaveLimiterHint : 1
; COMPUTE_PGM_RSRC2:SCRATCH_EN: 1
; COMPUTE_PGM_RSRC2:USER_SGPR: 15
; COMPUTE_PGM_RSRC2:TRAP_HANDLER: 0
; COMPUTE_PGM_RSRC2:TGID_X_EN: 1
; COMPUTE_PGM_RSRC2:TGID_Y_EN: 0
; COMPUTE_PGM_RSRC2:TGID_Z_EN: 0
; COMPUTE_PGM_RSRC2:TIDIG_COMP_CNT: 0
	.text
	.p2alignl 7, 3214868480
	.fill 96, 4, 3214868480
	.type	__hip_cuid_a5914c9e19d98e06,@object ; @__hip_cuid_a5914c9e19d98e06
	.section	.bss,"aw",@nobits
	.globl	__hip_cuid_a5914c9e19d98e06
__hip_cuid_a5914c9e19d98e06:
	.byte	0                               ; 0x0
	.size	__hip_cuid_a5914c9e19d98e06, 1

	.ident	"AMD clang version 19.0.0git (https://github.com/RadeonOpenCompute/llvm-project roc-6.4.0 25133 c7fe45cf4b819c5991fe208aaa96edf142730f1d)"
	.section	".note.GNU-stack","",@progbits
	.addrsig
	.addrsig_sym __hip_cuid_a5914c9e19d98e06
	.amdgpu_metadata
---
amdhsa.kernels:
  - .args:
      - .actual_access:  read_only
        .address_space:  global
        .offset:         0
        .size:           8
        .value_kind:     global_buffer
      - .actual_access:  read_only
        .address_space:  global
        .offset:         8
        .size:           8
        .value_kind:     global_buffer
      - .actual_access:  read_only
        .address_space:  global
        .offset:         16
        .size:           8
        .value_kind:     global_buffer
      - .actual_access:  read_only
        .address_space:  global
        .offset:         24
        .size:           8
        .value_kind:     global_buffer
      - .actual_access:  read_only
        .address_space:  global
        .offset:         32
        .size:           8
        .value_kind:     global_buffer
      - .offset:         40
        .size:           8
        .value_kind:     by_value
      - .address_space:  global
        .offset:         48
        .size:           8
        .value_kind:     global_buffer
      - .address_space:  global
        .offset:         56
        .size:           8
        .value_kind:     global_buffer
      - .address_space:  global
        .offset:         64
        .size:           8
        .value_kind:     global_buffer
      - .address_space:  global
        .offset:         72
        .size:           8
        .value_kind:     global_buffer
      - .offset:         80
        .size:           4
        .value_kind:     by_value
      - .address_space:  global
        .offset:         88
        .size:           8
        .value_kind:     global_buffer
      - .address_space:  global
        .offset:         96
        .size:           8
        .value_kind:     global_buffer
    .group_segment_fixed_size: 10080
    .kernarg_segment_align: 8
    .kernarg_segment_size: 104
    .language:       OpenCL C
    .language_version:
      - 2
      - 0
    .max_flat_workgroup_size: 63
    .name:           bluestein_single_back_len630_dim1_dp_op_CI_CI
    .private_segment_fixed_size: 76
    .sgpr_count:     32
    .sgpr_spill_count: 0
    .symbol:         bluestein_single_back_len630_dim1_dp_op_CI_CI.kd
    .uniform_work_group_size: 1
    .uses_dynamic_stack: false
    .vgpr_count:     256
    .vgpr_spill_count: 18
    .wavefront_size: 32
    .workgroup_processor_mode: 1
amdhsa.target:   amdgcn-amd-amdhsa--gfx1100
amdhsa.version:
  - 1
  - 2
...

	.end_amdgpu_metadata
